;; amdgpu-corpus repo=ROCm/rocFFT kind=compiled arch=gfx1201 opt=O3
	.text
	.amdgcn_target "amdgcn-amd-amdhsa--gfx1201"
	.amdhsa_code_object_version 6
	.protected	bluestein_single_fwd_len156_dim1_dp_op_CI_CI ; -- Begin function bluestein_single_fwd_len156_dim1_dp_op_CI_CI
	.globl	bluestein_single_fwd_len156_dim1_dp_op_CI_CI
	.p2align	8
	.type	bluestein_single_fwd_len156_dim1_dp_op_CI_CI,@function
bluestein_single_fwd_len156_dim1_dp_op_CI_CI: ; @bluestein_single_fwd_len156_dim1_dp_op_CI_CI
; %bb.0:
	s_load_b128 s[16:19], s[0:1], 0x28
	v_mul_u32_u24_e32 v1, 0x13b2, v0
	s_mov_b32 s2, exec_lo
	s_delay_alu instid0(VALU_DEP_1) | instskip(NEXT) | instid1(VALU_DEP_1)
	v_lshrrev_b32_e32 v1, 16, v1
	v_mad_co_u64_u32 v[180:181], null, ttmp9, 9, v[1:2]
	v_mov_b32_e32 v181, 0
                                        ; kill: def $vgpr2 killed $sgpr0 killed $exec
	s_wait_kmcnt 0x0
	s_delay_alu instid0(VALU_DEP_1)
	v_cmpx_gt_u64_e64 s[16:17], v[180:181]
	s_cbranch_execz .LBB0_10
; %bb.1:
	s_clause 0x1
	s_load_b128 s[4:7], s[0:1], 0x18
	s_load_b128 s[8:11], s[0:1], 0x0
	v_mul_lo_u16 v1, v1, 13
	s_movk_i32 s2, 0xfa50
	s_mov_b32 s3, -1
	v_mul_hi_u32 v146, 0x38e38e39, v180
	s_delay_alu instid0(VALU_DEP_2) | instskip(NEXT) | instid1(VALU_DEP_2)
	v_sub_nc_u16 v88, v0, v1
	v_lshrrev_b32_e32 v146, 1, v146
	s_wait_kmcnt 0x0
	s_load_b128 s[12:15], s[4:5], 0x0
	s_wait_kmcnt 0x0
	v_mad_co_u64_u32 v[8:9], null, s14, v180, 0
	v_and_b32_e32 v249, 0xffff, v88
	s_mul_u64 s[4:5], s[12:13], 0x340
	s_mul_u64 s[2:3], s[12:13], s[2:3]
	s_delay_alu instid0(VALU_DEP_2) | instskip(NEXT) | instid1(VALU_DEP_2)
	v_mov_b32_e32 v0, v9
	v_mad_co_u64_u32 v[24:25], null, s12, v249, 0
	v_lshlrev_b32_e32 v89, 4, v249
	s_delay_alu instid0(VALU_DEP_2) | instskip(NEXT) | instid1(VALU_DEP_1)
	v_mov_b32_e32 v1, v25
	v_mad_co_u64_u32 v[2:3], null, s15, v180, v[0:1]
	s_delay_alu instid0(VALU_DEP_1)
	v_mad_co_u64_u32 v[10:11], null, s13, v249, v[1:2]
	v_mov_b32_e32 v9, v2
	s_clause 0x1
	global_load_b128 v[0:3], v89, s[8:9]
	global_load_b128 v[4:7], v89, s[8:9] offset:208
	s_mov_b32 s13, 0xbfebb67a
	v_lshlrev_b64_e32 v[26:27], 4, v[8:9]
	v_mov_b32_e32 v25, v10
	s_clause 0x3
	global_load_b128 v[8:11], v89, s[8:9] offset:832
	global_load_b128 v[12:15], v89, s[8:9] offset:1040
	;; [unrolled: 1-line block ×4, first 2 shown]
	v_add_co_u32 v30, vcc_lo, s18, v26
	v_lshlrev_b64_e32 v[28:29], 4, v[24:25]
	v_add_co_ci_u32_e32 v31, vcc_lo, s19, v27, vcc_lo
	global_load_b128 v[24:27], v89, s[8:9] offset:1248
	v_add_co_u32 v40, vcc_lo, v30, v28
	s_wait_alu 0xfffd
	v_add_co_ci_u32_e32 v41, vcc_lo, v31, v29, vcc_lo
	global_load_b128 v[28:31], v89, s[8:9] offset:2080
	v_add_co_u32 v42, vcc_lo, v40, s4
	s_wait_alu 0xfffd
	v_add_co_ci_u32_e32 v43, vcc_lo, s5, v41, vcc_lo
	s_clause 0x1
	global_load_b128 v[32:35], v89, s[8:9] offset:416
	global_load_b128 v[36:39], v89, s[8:9] offset:624
	v_add_co_u32 v44, vcc_lo, v42, s4
	s_wait_alu 0xfffd
	v_add_co_ci_u32_e32 v45, vcc_lo, s5, v43, vcc_lo
	global_load_b128 v[48:51], v[40:41], off
	v_add_co_u32 v46, vcc_lo, v44, s2
	s_wait_alu 0xfffd
	v_add_co_ci_u32_e32 v47, vcc_lo, s3, v45, vcc_lo
	s_clause 0x1
	global_load_b128 v[52:55], v[42:43], off
	global_load_b128 v[56:59], v[44:45], off
	v_add_co_u32 v64, vcc_lo, v46, s4
	s_wait_alu 0xfffd
	v_add_co_ci_u32_e32 v65, vcc_lo, s5, v47, vcc_lo
	s_delay_alu instid0(VALU_DEP_2) | instskip(SKIP_1) | instid1(VALU_DEP_2)
	v_add_co_u32 v40, vcc_lo, v64, s4
	s_wait_alu 0xfffd
	v_add_co_ci_u32_e32 v41, vcc_lo, s5, v65, vcc_lo
	s_clause 0x1
	global_load_b128 v[60:63], v[46:47], off
	global_load_b128 v[64:67], v[64:65], off
	v_add_co_u32 v42, vcc_lo, v40, s2
	s_wait_alu 0xfffd
	v_add_co_ci_u32_e32 v43, vcc_lo, s3, v41, vcc_lo
	global_load_b128 v[68:71], v[40:41], off
	v_add_co_u32 v44, vcc_lo, v42, s4
	s_wait_alu 0xfffd
	v_add_co_ci_u32_e32 v45, vcc_lo, s5, v43, vcc_lo
	;; [unrolled: 4-line block ×5, first 2 shown]
	s_mov_b32 s2, 0xe8584caa
	s_delay_alu instid0(VALU_DEP_2) | instskip(SKIP_1) | instid1(VALU_DEP_2)
	v_add_co_u32 v94, vcc_lo, v44, s4
	s_wait_alu 0xfffd
	v_add_co_ci_u32_e32 v95, vcc_lo, s5, v45, vcc_lo
	global_load_b128 v[84:87], v[42:43], off
	global_load_b128 v[40:43], v89, s[8:9] offset:1456
	global_load_b128 v[90:93], v[44:45], off
	global_load_b128 v[44:47], v89, s[8:9] offset:2288
	global_load_b128 v[94:97], v[94:95], off
	s_load_b128 s[4:7], s[6:7], 0x0
	s_mov_b32 s3, 0x3febb67a
	s_mov_b32 s12, s2
	v_cmp_gt_u16_e32 vcc_lo, 12, v88
	s_wait_loadcnt 0x17
	scratch_store_b128 off, v[0:3], off     ; 16-byte Folded Spill
	s_wait_loadcnt 0x16
	scratch_store_b128 off, v[4:7], off offset:16 ; 16-byte Folded Spill
	s_wait_loadcnt 0xd
	v_mul_f64_e32 v[98:99], v[50:51], v[2:3]
	v_mul_f64_e32 v[100:101], v[48:49], v[2:3]
	s_wait_loadcnt 0xc
	v_mul_f64_e32 v[102:103], v[54:55], v[10:11]
	v_mul_f64_e32 v[104:105], v[52:53], v[10:11]
	s_wait_loadcnt 0xb
	v_mul_f64_e32 v[106:107], v[58:59], v[18:19]
	v_mul_f64_e32 v[108:109], v[56:57], v[18:19]
	s_wait_loadcnt 0xa
	v_mul_f64_e32 v[110:111], v[62:63], v[6:7]
	v_mul_f64_e32 v[112:113], v[60:61], v[6:7]
	s_wait_loadcnt 0x9
	v_mul_f64_e32 v[114:115], v[66:67], v[14:15]
	v_mul_f64_e32 v[116:117], v[64:65], v[14:15]
	s_wait_loadcnt 0x8
	v_mul_f64_e32 v[118:119], v[70:71], v[22:23]
	v_mul_f64_e32 v[120:121], v[68:69], v[22:23]
	s_wait_loadcnt 0x7
	v_mul_f64_e32 v[122:123], v[74:75], v[34:35]
	v_mul_f64_e32 v[124:125], v[72:73], v[34:35]
	s_wait_loadcnt 0x6
	v_mul_f64_e32 v[126:127], v[78:79], v[26:27]
	v_mul_f64_e32 v[128:129], v[76:77], v[26:27]
	s_wait_loadcnt 0x5
	v_mul_f64_e32 v[130:131], v[82:83], v[30:31]
	v_mul_f64_e32 v[132:133], v[80:81], v[30:31]
	v_fma_f64 v[48:49], v[48:49], v[0:1], v[98:99]
	v_fma_f64 v[50:51], v[50:51], v[0:1], -v[100:101]
	v_lshl_add_u32 v98, v146, 3, v146
	s_wait_loadcnt 0x4
	v_mul_f64_e32 v[134:135], v[86:87], v[38:39]
	v_mul_f64_e32 v[136:137], v[84:85], v[38:39]
	s_wait_loadcnt 0x2
	v_mul_f64_e32 v[138:139], v[92:93], v[42:43]
	v_mul_f64_e32 v[140:141], v[90:91], v[42:43]
	;; [unrolled: 3-line block ×3, first 2 shown]
	v_fma_f64 v[52:53], v[52:53], v[8:9], v[102:103]
	v_fma_f64 v[54:55], v[54:55], v[8:9], -v[104:105]
	v_fma_f64 v[56:57], v[56:57], v[16:17], v[106:107]
	v_fma_f64 v[58:59], v[58:59], v[16:17], -v[108:109]
	v_sub_nc_u32_e32 v98, v180, v98
	v_fma_f64 v[60:61], v[60:61], v[4:5], v[110:111]
	v_fma_f64 v[62:63], v[62:63], v[4:5], -v[112:113]
	v_fma_f64 v[64:65], v[64:65], v[12:13], v[114:115]
	v_fma_f64 v[66:67], v[66:67], v[12:13], -v[116:117]
	v_mul_u32_u24_e32 v98, 0x9c, v98
	v_fma_f64 v[68:69], v[68:69], v[20:21], v[118:119]
	v_fma_f64 v[70:71], v[70:71], v[20:21], -v[120:121]
	s_delay_alu instid0(VALU_DEP_3) | instskip(SKIP_2) | instid1(VALU_DEP_3)
	v_lshlrev_b32_e32 v250, 4, v98
	v_fma_f64 v[72:73], v[72:73], v[32:33], v[122:123]
	v_fma_f64 v[74:75], v[74:75], v[32:33], -v[124:125]
	v_add_nc_u32_e32 v255, v89, v250
	v_fma_f64 v[76:77], v[76:77], v[24:25], v[126:127]
	v_fma_f64 v[78:79], v[78:79], v[24:25], -v[128:129]
	v_fma_f64 v[80:81], v[80:81], v[28:29], v[130:131]
	v_fma_f64 v[82:83], v[82:83], v[28:29], -v[132:133]
	v_and_b32_e32 v130, 0xff, v88
	v_fma_f64 v[84:85], v[84:85], v[36:37], v[134:135]
	v_fma_f64 v[86:87], v[86:87], v[36:37], -v[136:137]
	v_fma_f64 v[90:91], v[90:91], v[40:41], v[138:139]
	v_fma_f64 v[92:93], v[92:93], v[40:41], -v[140:141]
	;; [unrolled: 2-line block ×3, first 2 shown]
	ds_store_b128 v255, v[48:51]
	ds_store_b128 v255, v[60:63] offset:208
	ds_store_b128 v255, v[52:55] offset:832
	;; [unrolled: 1-line block ×11, first 2 shown]
	global_wb scope:SCOPE_SE
	s_wait_storecnt_dscnt 0x0
	s_wait_kmcnt 0x0
	s_barrier_signal -1
	s_barrier_wait -1
	global_inv scope:SCOPE_SE
	ds_load_b128 v[48:51], v255 offset:1664
	ds_load_b128 v[52:55], v255 offset:832
	;; [unrolled: 1-line block ×8, first 2 shown]
	ds_load_b128 v[80:83], v255
	ds_load_b128 v[84:87], v255 offset:208
	ds_load_b128 v[90:93], v255 offset:416
	;; [unrolled: 1-line block ×3, first 2 shown]
	global_wb scope:SCOPE_SE
	s_wait_dscnt 0x0
	s_barrier_signal -1
	s_barrier_wait -1
	global_inv scope:SCOPE_SE
	v_add_f64_e32 v[98:99], v[52:53], v[48:49]
	v_add_f64_e32 v[100:101], v[54:55], v[50:51]
	;; [unrolled: 1-line block ×9, first 2 shown]
	v_add_f64_e64 v[116:117], v[54:55], -v[50:51]
	v_add_f64_e32 v[54:55], v[82:83], v[54:55]
	v_add_f64_e32 v[122:123], v[90:91], v[68:69]
	;; [unrolled: 1-line block ×7, first 2 shown]
	v_fma_f64 v[80:81], v[98:99], -0.5, v[80:81]
	v_add_f64_e64 v[98:99], v[52:53], -v[48:49]
	v_fma_f64 v[82:83], v[100:101], -0.5, v[82:83]
	v_add_f64_e64 v[100:101], v[58:59], -v[62:63]
	;; [unrolled: 2-line block ×7, first 2 shown]
	v_fma_f64 v[96:97], v[112:113], -0.5, v[96:97]
	v_add_co_u32 v113, null, v249, 26
	v_add_co_u32 v112, null, v249, 13
	v_mul_lo_u16 v52, 0xab, v130
	s_delay_alu instid0(VALU_DEP_3)
	v_and_b32_e32 v56, 0xff, v113
	v_mul_lo_u16 v53, v88, 3
	v_add_f64_e32 v[48:49], v[114:115], v[48:49]
	v_add_f64_e32 v[50:51], v[54:55], v[50:51]
	v_lshrrev_b16 v162, 9, v52
	v_and_b32_e32 v52, 0xff, v112
	v_mul_lo_u16 v135, 0xab, v56
	v_add_f64_e32 v[56:57], v[122:123], v[64:65]
	v_add_f64_e32 v[58:59], v[124:125], v[66:67]
	v_and_b32_e32 v131, 0xffff, v53
	v_mul_lo_u16 v134, 0xab, v52
	v_add_f64_e32 v[52:53], v[118:119], v[60:61]
	v_add_f64_e32 v[54:55], v[120:121], v[62:63]
	;; [unrolled: 1-line block ×4, first 2 shown]
	v_mul_lo_u16 v133, v162, 3
	v_lshrrev_b16 v163, 9, v134
	v_lshrrev_b16 v165, 9, v135
	s_wait_alu 0xfffe
	v_fma_f64 v[64:65], v[116:117], s[2:3], v[80:81]
	v_fma_f64 v[68:69], v[116:117], s[12:13], v[80:81]
	;; [unrolled: 1-line block ×16, first 2 shown]
	v_sub_nc_u16 v164, v88, v133
	v_mul_lo_u16 v100, v163, 3
	v_mul_u32_u24_e32 v98, 3, v113
	v_mul_lo_u16 v102, v165, 3
	v_add_nc_u32_e32 v130, 39, v249
	v_mul_lo_u16 v101, v164, 48
	v_sub_nc_u16 v166, v112, v100
	v_lshl_add_u32 v238, v98, 4, v250
	v_sub_nc_u16 v100, v113, v102
	v_mul_u32_u24_e32 v132, 3, v112
	v_and_b32_e32 v98, 0xf0, v101
	v_mul_lo_u16 v101, v166, 48
	v_mul_u32_u24_e32 v99, 3, v130
	v_lshl_add_u32 v242, v131, 4, v250
	v_and_b32_e32 v167, 0xff, v100
	v_lshl_add_u32 v241, v132, 4, v250
	v_and_b32_e32 v100, 0xf0, v101
	v_add_co_u32 v98, s2, s10, v98
	v_lshl_add_u32 v237, v99, 4, v250
	s_wait_alu 0xf1ff
	v_add_co_ci_u32_e64 v99, null, s11, 0, s2
	ds_store_b128 v242, v[48:51]
	ds_store_b128 v242, v[64:67] offset:16
	ds_store_b128 v242, v[68:71] offset:32
	ds_store_b128 v241, v[52:55]
	ds_store_b128 v241, v[72:75] offset:16
	ds_store_b128 v241, v[76:79] offset:32
	;; [unrolled: 3-line block ×4, first 2 shown]
	v_add_co_u32 v48, s2, s10, v100
	s_wait_alu 0xf1ff
	v_add_co_ci_u32_e64 v49, null, s11, 0, s2
	v_mad_co_u64_u32 v[50:51], null, v167, 48, s[10:11]
	global_wb scope:SCOPE_SE
	s_wait_dscnt 0x0
	s_barrier_signal -1
	s_barrier_wait -1
	global_inv scope:SCOPE_SE
	s_clause 0x8
	global_load_b128 v[80:83], v[98:99], off offset:16
	global_load_b128 v[84:87], v[98:99], off
	global_load_b128 v[76:79], v[98:99], off offset:32
	global_load_b128 v[72:75], v[48:49], off
	global_load_b128 v[64:67], v[48:49], off offset:16
	global_load_b128 v[52:55], v[48:49], off offset:32
	global_load_b128 v[68:71], v[50:51], off
	global_load_b128 v[60:63], v[50:51], off offset:16
	global_load_b128 v[56:59], v[50:51], off offset:32
	ds_load_b128 v[48:51], v255 offset:624
	ds_load_b128 v[90:93], v255 offset:1248
	;; [unrolled: 1-line block ×10, first 2 shown]
	s_load_b64 s[2:3], s[0:1], 0x38
	v_add_co_u32 v181, s0, s8, v89
	s_wait_alu 0xf1ff
	v_add_co_ci_u32_e64 v182, null, s9, 0, s0
	s_wait_loadcnt_dscnt 0x607
	v_mul_f64_e32 v[134:135], v[96:97], v[78:79]
	v_mul_f64_e32 v[136:137], v[94:95], v[78:79]
	s_wait_loadcnt_dscnt 0x506
	v_mul_f64_e32 v[138:139], v[100:101], v[74:75]
	v_mul_f64_e32 v[140:141], v[98:99], v[74:75]
	;; [unrolled: 1-line block ×6, first 2 shown]
	s_wait_loadcnt_dscnt 0x405
	v_mul_f64_e32 v[142:143], v[104:105], v[66:67]
	v_mul_f64_e32 v[144:145], v[102:103], v[66:67]
	s_wait_loadcnt_dscnt 0x304
	v_mul_f64_e32 v[146:147], v[108:109], v[54:55]
	v_mul_f64_e32 v[148:149], v[106:107], v[54:55]
	;; [unrolled: 3-line block ×5, first 2 shown]
	v_fma_f64 v[94:95], v[94:95], v[76:77], -v[134:135]
	v_fma_f64 v[96:97], v[96:97], v[76:77], v[136:137]
	v_fma_f64 v[98:99], v[98:99], v[72:73], -v[138:139]
	v_fma_f64 v[100:101], v[100:101], v[72:73], v[140:141]
	v_fma_f64 v[130:131], v[90:91], v[80:81], -v[130:131]
	v_fma_f64 v[126:127], v[48:49], v[84:85], -v[126:127]
	v_fma_f64 v[128:129], v[50:51], v[84:85], v[128:129]
	v_fma_f64 v[132:133], v[92:93], v[80:81], v[132:133]
	v_fma_f64 v[102:103], v[102:103], v[64:65], -v[142:143]
	v_fma_f64 v[104:105], v[104:105], v[64:65], v[144:145]
	v_fma_f64 v[106:107], v[106:107], v[52:53], -v[146:147]
	;; [unrolled: 2-line block ×5, first 2 shown]
	v_fma_f64 v[120:121], v[120:121], v[56:57], v[160:161]
	ds_load_b128 v[48:51], v255
	ds_load_b128 v[90:93], v255 offset:208
	global_wb scope:SCOPE_SE
	s_wait_dscnt 0x0
	s_wait_kmcnt 0x0
	s_barrier_signal -1
	s_barrier_wait -1
	global_inv scope:SCOPE_SE
	v_add_f64_e64 v[130:131], v[48:49], -v[130:131]
	v_add_f64_e64 v[94:95], v[126:127], -v[94:95]
	;; [unrolled: 1-line block ×12, first 2 shown]
	v_fma_f64 v[120:121], v[48:49], 2.0, -v[130:131]
	v_fma_f64 v[48:49], v[126:127], 2.0, -v[94:95]
	v_add_f64_e64 v[108:109], v[130:131], -v[96:97]
	v_fma_f64 v[148:149], v[50:51], 2.0, -v[136:137]
	v_fma_f64 v[50:51], v[128:129], 2.0, -v[96:97]
	;; [unrolled: 1-line block ×6, first 2 shown]
	v_add_f64_e64 v[140:141], v[138:139], -v[102:103]
	v_fma_f64 v[150:151], v[122:123], 2.0, -v[146:147]
	v_fma_f64 v[152:153], v[124:125], 2.0, -v[116:117]
	;; [unrolled: 1-line block ×4, first 2 shown]
	v_add_f64_e32 v[110:111], v[136:137], v[94:95]
	v_add_f64_e32 v[142:143], v[144:145], v[132:133]
	v_add_f64_e64 v[112:113], v[146:147], -v[118:119]
	v_add_f64_e32 v[114:115], v[116:117], v[114:115]
	v_add_f64_e64 v[104:105], v[120:121], -v[48:49]
	v_fma_f64 v[48:49], v[130:131], 2.0, -v[108:109]
	v_add_f64_e64 v[106:107], v[148:149], -v[50:51]
	v_add_f64_e64 v[100:101], v[90:91], -v[98:99]
	;; [unrolled: 1-line block ×5, first 2 shown]
	v_fma_f64 v[50:51], v[136:137], 2.0, -v[110:111]
	v_fma_f64 v[124:125], v[138:139], 2.0, -v[140:141]
	;; [unrolled: 1-line block ×5, first 2 shown]
                                        ; implicit-def: $vgpr116_vgpr117
	v_fma_f64 v[136:137], v[120:121], 2.0, -v[104:105]
	v_fma_f64 v[138:139], v[148:149], 2.0, -v[106:107]
	;; [unrolled: 1-line block ×4, first 2 shown]
	v_mul_lo_u16 v90, v162, 12
	v_mul_lo_u16 v91, v163, 12
	v_and_b32_e32 v92, 0xffff, v165
	v_fma_f64 v[144:145], v[150:151], 2.0, -v[132:133]
	v_fma_f64 v[146:147], v[152:153], 2.0, -v[134:135]
	v_or_b32_e32 v93, v90, v164
	v_or_b32_e32 v94, v91, v166
	v_mul_u32_u24_e32 v92, 12, v92
	s_delay_alu instid0(VALU_DEP_3) | instskip(NEXT) | instid1(VALU_DEP_3)
	v_and_b32_e32 v88, 0xff, v93
	v_and_b32_e32 v90, 0xff, v94
	s_delay_alu instid0(VALU_DEP_3) | instskip(NEXT) | instid1(VALU_DEP_3)
	v_or_b32_e32 v91, v92, v167
	v_lshl_add_u32 v234, v88, 4, v250
	s_delay_alu instid0(VALU_DEP_3) | instskip(NEXT) | instid1(VALU_DEP_3)
	v_lshl_add_u32 v233, v90, 4, v250
	v_lshl_add_u32 v191, v91, 4, v250
	ds_store_b128 v234, v[104:107] offset:96
	ds_store_b128 v234, v[108:111] offset:144
	ds_store_b128 v234, v[136:139]
	ds_store_b128 v234, v[48:51] offset:48
	ds_store_b128 v233, v[120:123]
	ds_store_b128 v233, v[124:127] offset:48
	ds_store_b128 v233, v[100:103] offset:96
	;; [unrolled: 1-line block ×3, first 2 shown]
	ds_store_b128 v191, v[144:147]
	ds_store_b128 v191, v[128:131] offset:48
	ds_store_b128 v191, v[132:135] offset:96
	;; [unrolled: 1-line block ×3, first 2 shown]
	global_wb scope:SCOPE_SE
	s_wait_dscnt 0x0
	s_barrier_signal -1
	s_barrier_wait -1
	global_inv scope:SCOPE_SE
	s_and_saveexec_b32 s0, vcc_lo
	s_cbranch_execz .LBB0_3
; %bb.2:
	ds_load_b128 v[136:139], v255
	ds_load_b128 v[48:51], v255 offset:192
	ds_load_b128 v[104:107], v255 offset:384
	ds_load_b128 v[108:111], v255 offset:576
	ds_load_b128 v[120:123], v255 offset:768
	ds_load_b128 v[124:127], v255 offset:960
	ds_load_b128 v[100:103], v255 offset:1152
	ds_load_b128 v[140:143], v255 offset:1344
	ds_load_b128 v[144:147], v255 offset:1536
	ds_load_b128 v[128:131], v255 offset:1728
	ds_load_b128 v[132:135], v255 offset:1920
	ds_load_b128 v[112:115], v255 offset:2112
	ds_load_b128 v[116:119], v255 offset:2304
.LBB0_3:
	s_wait_alu 0xfffe
	s_or_b32 exec_lo, exec_lo, s0
	v_add_nc_u32_e32 v88, -12, v249
	s_mov_b32 s22, 0x4267c47c
	s_mov_b32 s23, 0xbfddbe06
	;; [unrolled: 1-line block ×4, first 2 shown]
	v_cndmask_b32_e32 v88, v88, v249, vcc_lo
	s_mov_b32 s19, 0x3fec55a7
	s_mov_b32 s21, 0xbfea55e2
	;; [unrolled: 1-line block ×4, first 2 shown]
	v_mul_i32_i24_e32 v89, 0xc0, v88
	v_mul_hi_i32_i24_e32 v88, 0xc0, v88
	s_mov_b32 s24, 0x2ef20147
	s_mov_b32 s25, 0xbfedeba7
	;; [unrolled: 1-line block ×3, first 2 shown]
	v_add_co_u32 v148, s0, s10, v89
	s_wait_alu 0xf1ff
	v_add_co_ci_u32_e64 v149, s0, s11, v88, s0
	s_mov_b32 s0, 0x1ea71119
	s_mov_b32 s1, 0x3fe22d96
	;; [unrolled: 1-line block ×3, first 2 shown]
	s_clause 0x1
	global_load_b128 v[88:91], v[148:149], off offset:144
	global_load_b128 v[92:95], v[148:149], off offset:160
	s_mov_b32 s11, 0x3fbedb7d
	s_mov_b32 s13, 0xbfd6b1d8
	;; [unrolled: 1-line block ×10, first 2 shown]
	s_wait_loadcnt_dscnt 0x10b
	v_mul_f64_e32 v[96:97], v[50:51], v[90:91]
	s_delay_alu instid0(VALU_DEP_1) | instskip(SKIP_1) | instid1(VALU_DEP_1)
	v_fma_f64 v[217:218], v[48:49], v[88:89], -v[96:97]
	v_mul_f64_e32 v[48:49], v[48:49], v[90:91]
	v_fma_f64 v[225:226], v[50:51], v[88:89], v[48:49]
	s_clause 0x1
	global_load_b128 v[48:51], v[148:149], off offset:320
	global_load_b128 v[96:99], v[148:149], off offset:304
	s_wait_loadcnt_dscnt 0x100
	v_mul_f64_e32 v[150:151], v[116:117], v[50:51]
	s_delay_alu instid0(VALU_DEP_1) | instskip(SKIP_1) | instid1(VALU_DEP_2)
	v_fma_f64 v[194:195], v[118:119], v[48:49], v[150:151]
	v_mul_f64_e32 v[118:119], v[118:119], v[50:51]
	v_add_f64_e64 v[172:173], v[225:226], -v[194:195]
	s_delay_alu instid0(VALU_DEP_2) | instskip(SKIP_2) | instid1(VALU_DEP_4)
	v_fma_f64 v[154:155], v[116:117], v[48:49], -v[118:119]
	v_mul_f64_e32 v[116:117], v[106:107], v[94:95]
	v_add_f64_e32 v[162:163], v[225:226], v[194:195]
	v_mul_f64_e32 v[156:157], s[22:23], v[172:173]
	s_delay_alu instid0(VALU_DEP_4) | instskip(NEXT) | instid1(VALU_DEP_4)
	v_add_f64_e32 v[158:159], v[217:218], v[154:155]
	v_fma_f64 v[209:210], v[104:105], v[92:93], -v[116:117]
	v_mul_f64_e32 v[104:105], v[104:105], v[94:95]
	v_add_f64_e64 v[176:177], v[217:218], -v[154:155]
	s_delay_alu instid0(VALU_DEP_2) | instskip(SKIP_2) | instid1(VALU_DEP_3)
	v_fma_f64 v[211:212], v[106:107], v[92:93], v[104:105]
	s_wait_loadcnt 0x0
	v_mul_f64_e32 v[104:105], v[112:113], v[98:99]
	v_mul_f64_e32 v[160:161], s[22:23], v[176:177]
	s_delay_alu instid0(VALU_DEP_2) | instskip(SKIP_1) | instid1(VALU_DEP_2)
	v_fma_f64 v[198:199], v[114:115], v[96:97], v[104:105]
	v_mul_f64_e32 v[104:105], v[114:115], v[98:99]
	v_add_f64_e64 v[174:175], v[211:212], -v[198:199]
	s_delay_alu instid0(VALU_DEP_2)
	v_fma_f64 v[196:197], v[112:113], v[96:97], -v[104:105]
	s_clause 0x1
	global_load_b128 v[104:107], v[148:149], off offset:176
	global_load_b128 v[112:115], v[148:149], off offset:192
	v_add_f64_e32 v[239:240], v[211:212], v[198:199]
	v_mul_f64_e32 v[0:1], s[20:21], v[174:175]
	v_add_f64_e32 v[231:232], v[209:210], v[196:197]
	v_add_f64_e64 v[178:179], v[209:210], -v[196:197]
	s_delay_alu instid0(VALU_DEP_1) | instskip(SKIP_2) | instid1(VALU_DEP_1)
	v_mul_f64_e32 v[4:5], s[20:21], v[178:179]
	s_wait_loadcnt 0x1
	v_mul_f64_e32 v[116:117], v[110:111], v[106:107]
	v_fma_f64 v[205:206], v[108:109], v[104:105], -v[116:117]
	v_mul_f64_e32 v[108:109], v[108:109], v[106:107]
	s_delay_alu instid0(VALU_DEP_1)
	v_fma_f64 v[221:222], v[110:111], v[104:105], v[108:109]
	s_clause 0x1
	global_load_b128 v[108:111], v[148:149], off offset:288
	global_load_b128 v[116:119], v[148:149], off offset:272
	s_wait_loadcnt 0x1
	v_mul_f64_e32 v[150:151], v[134:135], v[110:111]
	s_delay_alu instid0(VALU_DEP_1) | instskip(SKIP_1) | instid1(VALU_DEP_2)
	v_fma_f64 v[150:151], v[132:133], v[108:109], -v[150:151]
	v_mul_f64_e32 v[132:133], v[132:133], v[110:111]
	v_add_f64_e32 v[235:236], v[205:206], v[150:151]
	s_delay_alu instid0(VALU_DEP_2) | instskip(SKIP_2) | instid1(VALU_DEP_3)
	v_fma_f64 v[200:201], v[134:135], v[108:109], v[132:133]
	v_mul_f64_e32 v[132:133], v[122:123], v[114:115]
	v_add_f64_e64 v[166:167], v[205:206], -v[150:151]
	v_add_f64_e64 v[164:165], v[221:222], -v[200:201]
	s_delay_alu instid0(VALU_DEP_3) | instskip(SKIP_2) | instid1(VALU_DEP_4)
	v_fma_f64 v[207:208], v[120:121], v[112:113], -v[132:133]
	v_mul_f64_e32 v[120:121], v[120:121], v[114:115]
	v_add_f64_e32 v[247:248], v[221:222], v[200:201]
	v_mul_f64_e32 v[2:3], s[26:27], v[164:165]
	s_delay_alu instid0(VALU_DEP_3) | instskip(SKIP_2) | instid1(VALU_DEP_1)
	v_fma_f64 v[223:224], v[122:123], v[112:113], v[120:121]
	s_wait_loadcnt 0x0
	v_mul_f64_e32 v[120:121], v[130:131], v[118:119]
	v_fma_f64 v[245:246], v[128:129], v[116:117], -v[120:121]
	v_mul_f64_e32 v[120:121], v[128:129], v[118:119]
	s_delay_alu instid0(VALU_DEP_2) | instskip(NEXT) | instid1(VALU_DEP_2)
	v_add_f64_e32 v[243:244], v[207:208], v[245:246]
	v_fma_f64 v[253:254], v[130:131], v[116:117], v[120:121]
	s_clause 0x1
	global_load_b128 v[120:123], v[148:149], off offset:208
	global_load_b128 v[128:131], v[148:149], off offset:224
	v_add_f64_e64 v[168:169], v[207:208], -v[245:246]
	v_add_f64_e64 v[170:171], v[223:224], -v[253:254]
	s_delay_alu instid0(VALU_DEP_1) | instskip(SKIP_2) | instid1(VALU_DEP_1)
	v_mul_f64_e32 v[6:7], s[24:25], v[170:171]
	s_wait_loadcnt 0x1
	v_mul_f64_e32 v[132:133], v[126:127], v[122:123]
	v_fma_f64 v[213:214], v[124:125], v[120:121], -v[132:133]
	v_mul_f64_e32 v[124:125], v[124:125], v[122:123]
	s_delay_alu instid0(VALU_DEP_1)
	v_fma_f64 v[227:228], v[126:127], v[120:121], v[124:125]
	s_clause 0x1
	global_load_b128 v[124:127], v[148:149], off offset:256
	global_load_b128 v[132:135], v[148:149], off offset:240
	s_wait_loadcnt 0x1
	v_mul_f64_e32 v[148:149], v[146:147], v[126:127]
	s_delay_alu instid0(VALU_DEP_1) | instskip(SKIP_1) | instid1(VALU_DEP_2)
	v_fma_f64 v[148:149], v[144:145], v[124:125], -v[148:149]
	v_mul_f64_e32 v[144:145], v[144:145], v[126:127]
	v_add_f64_e32 v[251:252], v[213:214], v[148:149]
	s_delay_alu instid0(VALU_DEP_2)
	v_fma_f64 v[146:147], v[146:147], v[124:125], v[144:145]
	v_mul_f64_e32 v[144:145], v[102:103], v[130:131]
	v_add_f64_e64 v[183:184], v[213:214], -v[148:149]
	scratch_store_b64 off, v[148:149], off offset:32 ; 8-byte Folded Spill
	v_add_f64_e64 v[187:188], v[227:228], -v[146:147]
	v_fma_f64 v[215:216], v[100:101], v[128:129], -v[144:145]
	v_mul_f64_e32 v[100:101], v[100:101], v[130:131]
	v_mul_f64_e32 v[144:145], s[24:25], v[168:169]
	v_add_f64_e32 v[148:149], v[227:228], v[146:147]
	s_delay_alu instid0(VALU_DEP_3) | instskip(SKIP_4) | instid1(VALU_DEP_2)
	v_fma_f64 v[229:230], v[102:103], v[128:129], v[100:101]
	s_wait_loadcnt 0x0
	v_mul_f64_e32 v[100:101], v[142:143], v[134:135]
	s_wait_alu 0xf1fe
	v_fma_f64 v[102:103], v[231:232], s[0:1], v[0:1]
	v_fma_f64 v[203:204], v[140:141], v[132:133], -v[100:101]
	v_mul_f64_e32 v[100:101], v[140:141], v[134:135]
	v_fma_f64 v[140:141], v[239:240], s[0:1], -v[4:5]
	s_delay_alu instid0(VALU_DEP_3) | instskip(NEXT) | instid1(VALU_DEP_3)
	v_add_f64_e64 v[185:186], v[215:216], -v[203:204]
	v_fma_f64 v[219:220], v[142:143], v[132:133], v[100:101]
	v_fma_f64 v[100:101], v[158:159], s[18:19], v[156:157]
	v_mul_f64_e32 v[142:143], s[26:27], v[166:167]
	s_delay_alu instid0(VALU_DEP_4)
	v_mul_f64_e32 v[192:193], s[28:29], v[185:186]
	scratch_store_b64 off, v[144:145], off offset:48 ; 8-byte Folded Spill
	v_add_f64_e32 v[100:101], v[136:137], v[100:101]
	v_add_f64_e64 v[189:190], v[229:230], -v[219:220]
	scratch_store_b64 off, v[192:193], off offset:72 ; 8-byte Folded Spill
	v_add_f64_e32 v[100:101], v[102:103], v[100:101]
	v_fma_f64 v[102:103], v[162:163], s[18:19], -v[160:161]
	v_mul_f64_e32 v[152:153], s[28:29], v[189:190]
	s_delay_alu instid0(VALU_DEP_2) | instskip(SKIP_3) | instid1(VALU_DEP_1)
	v_add_f64_e32 v[102:103], v[138:139], v[102:103]
	scratch_store_b64 off, v[152:153], off offset:56 ; 8-byte Folded Spill
	v_add_f64_e32 v[102:103], v[140:141], v[102:103]
	v_fma_f64 v[140:141], v[235:236], s[10:11], v[2:3]
	v_add_f64_e32 v[100:101], v[140:141], v[100:101]
	v_fma_f64 v[140:141], v[247:248], s[10:11], -v[142:143]
	s_delay_alu instid0(VALU_DEP_1) | instskip(SKIP_1) | instid1(VALU_DEP_1)
	v_add_f64_e32 v[102:103], v[140:141], v[102:103]
	v_fma_f64 v[140:141], v[243:244], s[12:13], v[6:7]
	v_add_f64_e32 v[100:101], v[140:141], v[100:101]
	v_add_f64_e32 v[140:141], v[223:224], v[253:254]
	s_delay_alu instid0(VALU_DEP_1) | instskip(NEXT) | instid1(VALU_DEP_1)
	v_fma_f64 v[144:145], v[140:141], s[12:13], -v[144:145]
	v_add_f64_e32 v[102:103], v[144:145], v[102:103]
	v_mul_f64_e32 v[144:145], s[30:31], v[187:188]
	scratch_store_b64 off, v[144:145], off offset:40 ; 8-byte Folded Spill
	v_fma_f64 v[144:145], v[251:252], s[14:15], v[144:145]
	s_delay_alu instid0(VALU_DEP_1) | instskip(SKIP_3) | instid1(VALU_DEP_1)
	v_add_f64_e32 v[100:101], v[144:145], v[100:101]
	v_mul_f64_e32 v[144:145], s[30:31], v[183:184]
	scratch_store_b64 off, v[144:145], off offset:64 ; 8-byte Folded Spill
	v_fma_f64 v[144:145], v[148:149], s[14:15], -v[144:145]
	v_add_f64_e32 v[102:103], v[144:145], v[102:103]
	v_add_f64_e32 v[144:145], v[215:216], v[203:204]
	s_delay_alu instid0(VALU_DEP_1) | instskip(NEXT) | instid1(VALU_DEP_1)
	v_fma_f64 v[152:153], v[144:145], s[16:17], v[152:153]
	v_add_f64_e32 v[100:101], v[152:153], v[100:101]
	v_add_f64_e32 v[152:153], v[229:230], v[219:220]
	s_delay_alu instid0(VALU_DEP_1) | instskip(NEXT) | instid1(VALU_DEP_1)
	v_fma_f64 v[192:193], v[152:153], s[16:17], -v[192:193]
	v_add_f64_e32 v[102:103], v[192:193], v[102:103]
	s_and_saveexec_b32 s33, vcc_lo
	s_cbranch_execz .LBB0_5
; %bb.4:
	v_mul_f64_e32 v[192:193], s[16:17], v[162:163]
	s_mov_b32 s39, 0x3fcea1e5
	s_mov_b32 s38, s28
	s_clause 0x4
	scratch_store_b32 off, v237, off offset:88
	scratch_store_b32 off, v238, off offset:92
	scratch_store_b64 off, v[194:195], off offset:100
	scratch_store_b64 off, v[196:197], off offset:108
	;; [unrolled: 1-line block ×3, first 2 shown]
	v_mul_f64_e32 v[194:195], s[18:19], v[239:240]
	scratch_store_b32 off, v241, off offset:96 ; 4-byte Folded Spill
	v_dual_mov_b32 v202, v242 :: v_dual_mov_b32 v201, v191
	s_mov_b32 s35, 0x3fddbe06
	s_mov_b32 s34, s22
	s_clause 0x2
	scratch_store_b64 off, v[245:246], off offset:164
	scratch_store_b64 off, v[253:254], off offset:188
	;; [unrolled: 1-line block ×3, first 2 shown]
	v_mul_f64_e32 v[245:246], s[34:35], v[174:175]
	v_dual_mov_b32 v200, v249 :: v_dual_mov_b32 v191, v250
	s_mov_b32 s37, 0x3fe5384d
	s_mov_b32 s36, s30
	scratch_store_b64 off, v[142:143], off offset:284 ; 8-byte Folded Spill
	s_mov_b32 s43, 0x3fea55e2
	s_mov_b32 s42, s20
	s_clause 0x1
	scratch_store_b32 off, v233, off offset:80
	scratch_store_b32 off, v234, off offset:84
	s_mov_b32 s45, 0x3fedeba7
	s_mov_b32 s44, s24
	s_clause 0x3
	scratch_store_b64 off, v[150:151], off offset:140
	scratch_store_b64 off, v[198:199], off offset:148
	;; [unrolled: 1-line block ×4, first 2 shown]
	s_mov_b32 s41, 0x3fefc445
	s_mov_b32 s40, s26
	s_clause 0x1
	scratch_store_b64 off, v[0:1], off offset:300
	scratch_store_b64 off, v[4:5], off offset:308
	v_fma_f64 v[237:238], v[176:177], s[38:39], v[192:193]
	v_fma_f64 v[241:242], v[178:179], s[22:23], v[194:195]
	;; [unrolled: 1-line block ×3, first 2 shown]
	s_delay_alu instid0(VALU_DEP_3) | instskip(NEXT) | instid1(VALU_DEP_1)
	v_add_f64_e32 v[237:238], v[138:139], v[237:238]
	v_add_f64_e32 v[237:238], v[241:242], v[237:238]
	v_mul_f64_e32 v[241:242], s[28:29], v[172:173]
	s_delay_alu instid0(VALU_DEP_1) | instskip(NEXT) | instid1(VALU_DEP_1)
	v_fma_f64 v[196:197], v[158:159], s[16:17], v[241:242]
	v_add_f64_e32 v[196:197], v[136:137], v[196:197]
	s_delay_alu instid0(VALU_DEP_1) | instskip(SKIP_1) | instid1(VALU_DEP_1)
	v_add_f64_e32 v[196:197], v[249:250], v[196:197]
	v_mul_f64_e32 v[249:250], s[14:15], v[247:248]
	v_fma_f64 v[253:254], v[166:167], s[36:37], v[249:250]
	s_delay_alu instid0(VALU_DEP_1) | instskip(SKIP_1) | instid1(VALU_DEP_1)
	v_add_f64_e32 v[237:238], v[253:254], v[237:238]
	v_mul_f64_e32 v[253:254], s[30:31], v[164:165]
	v_fma_f64 v[142:143], v[235:236], s[14:15], v[253:254]
	;; [unrolled: 4-line block ×6, first 2 shown]
	v_fma_f64 v[150:151], v[251:252], s[12:13], -v[150:151]
	s_delay_alu instid0(VALU_DEP_2) | instskip(SKIP_1) | instid1(VALU_DEP_1)
	v_add_f64_e32 v[142:143], v[198:199], v[142:143]
	v_mul_f64_e32 v[198:199], s[10:11], v[152:153]
	v_fma_f64 v[154:155], v[185:186], s[26:27], v[198:199]
	s_delay_alu instid0(VALU_DEP_1) | instskip(SKIP_1) | instid1(VALU_DEP_1)
	v_add_f64_e32 v[2:3], v[154:155], v[146:147]
	v_mul_f64_e32 v[146:147], s[40:41], v[189:190]
	v_fma_f64 v[154:155], v[144:145], s[10:11], v[146:147]
	v_fma_f64 v[146:147], v[144:145], s[10:11], -v[146:147]
	s_delay_alu instid0(VALU_DEP_2)
	v_add_f64_e32 v[0:1], v[154:155], v[142:143]
	v_fma_f64 v[142:143], v[176:177], s[28:29], v[192:193]
	v_fma_f64 v[154:155], v[178:179], s[34:35], v[194:195]
	v_fma_f64 v[192:193], v[231:232], s[18:19], -v[245:246]
	v_mul_f64_e32 v[194:195], s[40:41], v[174:175]
	scratch_store_b128 off, v[0:3], off offset:124 ; 16-byte Folded Spill
	v_add_f64_e32 v[142:143], v[138:139], v[142:143]
	s_delay_alu instid0(VALU_DEP_1) | instskip(SKIP_1) | instid1(VALU_DEP_1)
	v_add_f64_e32 v[142:143], v[154:155], v[142:143]
	v_fma_f64 v[154:155], v[158:159], s[16:17], -v[241:242]
	v_add_f64_e32 v[154:155], v[136:137], v[154:155]
	s_delay_alu instid0(VALU_DEP_1) | instskip(SKIP_1) | instid1(VALU_DEP_1)
	v_add_f64_e32 v[154:155], v[192:193], v[154:155]
	v_fma_f64 v[192:193], v[166:167], s[30:31], v[249:250]
	v_add_f64_e32 v[142:143], v[192:193], v[142:143]
	v_fma_f64 v[192:193], v[235:236], s[14:15], -v[253:254]
	s_delay_alu instid0(VALU_DEP_1) | instskip(SKIP_2) | instid1(VALU_DEP_2)
	v_add_f64_e32 v[154:155], v[192:193], v[154:155]
	v_fma_f64 v[192:193], v[168:169], s[42:43], v[196:197]
	v_fma_f64 v[196:197], v[231:232], s[10:11], v[194:195]
	v_add_f64_e32 v[142:143], v[192:193], v[142:143]
	v_fma_f64 v[192:193], v[243:244], s[0:1], -v[237:238]
	s_delay_alu instid0(VALU_DEP_1) | instskip(SKIP_1) | instid1(VALU_DEP_2)
	v_add_f64_e32 v[154:155], v[192:193], v[154:155]
	v_fma_f64 v[192:193], v[183:184], s[24:25], v[233:234]
	v_add_f64_e32 v[150:151], v[150:151], v[154:155]
	s_delay_alu instid0(VALU_DEP_2) | instskip(SKIP_1) | instid1(VALU_DEP_3)
	v_add_f64_e32 v[142:143], v[192:193], v[142:143]
	v_fma_f64 v[154:155], v[185:186], s[40:41], v[198:199]
	v_add_f64_e32 v[0:1], v[146:147], v[150:151]
	v_mul_f64_e32 v[150:151], s[10:11], v[239:240]
	s_delay_alu instid0(VALU_DEP_3) | instskip(SKIP_1) | instid1(VALU_DEP_3)
	v_add_f64_e32 v[2:3], v[154:155], v[142:143]
	v_mul_f64_e32 v[142:143], s[14:15], v[162:163]
	v_fma_f64 v[154:155], v[178:179], s[26:27], v[150:151]
	v_fma_f64 v[150:151], v[178:179], s[40:41], v[150:151]
	s_delay_alu instid0(VALU_DEP_3) | instskip(SKIP_4) | instid1(VALU_DEP_2)
	v_fma_f64 v[146:147], v[176:177], s[36:37], v[142:143]
	v_fma_f64 v[142:143], v[176:177], s[30:31], v[142:143]
	scratch_store_b128 off, v[0:3], off offset:172 ; 16-byte Folded Spill
	v_add_f64_e32 v[146:147], v[138:139], v[146:147]
	v_add_f64_e32 v[142:143], v[138:139], v[142:143]
	;; [unrolled: 1-line block ×3, first 2 shown]
	v_mul_f64_e32 v[154:155], s[30:31], v[172:173]
	s_delay_alu instid0(VALU_DEP_3) | instskip(NEXT) | instid1(VALU_DEP_2)
	v_add_f64_e32 v[142:143], v[150:151], v[142:143]
	v_fma_f64 v[192:193], v[158:159], s[14:15], v[154:155]
	v_fma_f64 v[150:151], v[158:159], s[14:15], -v[154:155]
	v_fma_f64 v[154:155], v[231:232], s[10:11], -v[194:195]
	v_mul_f64_e32 v[194:195], s[36:37], v[174:175]
	s_delay_alu instid0(VALU_DEP_4) | instskip(NEXT) | instid1(VALU_DEP_4)
	v_add_f64_e32 v[192:193], v[136:137], v[192:193]
	v_add_f64_e32 v[150:151], v[136:137], v[150:151]
	s_delay_alu instid0(VALU_DEP_2) | instskip(SKIP_1) | instid1(VALU_DEP_3)
	v_add_f64_e32 v[192:193], v[196:197], v[192:193]
	v_mul_f64_e32 v[196:197], s[0:1], v[247:248]
	v_add_f64_e32 v[150:151], v[154:155], v[150:151]
	s_delay_alu instid0(VALU_DEP_2) | instskip(SKIP_2) | instid1(VALU_DEP_3)
	v_fma_f64 v[198:199], v[166:167], s[42:43], v[196:197]
	v_fma_f64 v[154:155], v[166:167], s[20:21], v[196:197]
	;; [unrolled: 1-line block ×3, first 2 shown]
	v_add_f64_e32 v[146:147], v[198:199], v[146:147]
	v_mul_f64_e32 v[198:199], s[20:21], v[164:165]
	s_delay_alu instid0(VALU_DEP_4) | instskip(NEXT) | instid1(VALU_DEP_2)
	v_add_f64_e32 v[142:143], v[154:155], v[142:143]
	v_fma_f64 v[233:234], v[235:236], s[0:1], v[198:199]
	v_fma_f64 v[154:155], v[235:236], s[0:1], -v[198:199]
	s_delay_alu instid0(VALU_DEP_2) | instskip(SKIP_1) | instid1(VALU_DEP_3)
	v_add_f64_e32 v[192:193], v[233:234], v[192:193]
	v_mul_f64_e32 v[233:234], s[16:17], v[140:141]
	v_add_f64_e32 v[150:151], v[154:155], v[150:151]
	s_delay_alu instid0(VALU_DEP_2) | instskip(SKIP_1) | instid1(VALU_DEP_2)
	v_fma_f64 v[237:238], v[168:169], s[28:29], v[233:234]
	v_fma_f64 v[154:155], v[168:169], s[38:39], v[233:234]
	v_add_f64_e32 v[146:147], v[237:238], v[146:147]
	v_mul_f64_e32 v[237:238], s[38:39], v[170:171]
	s_delay_alu instid0(VALU_DEP_3) | instskip(NEXT) | instid1(VALU_DEP_2)
	v_add_f64_e32 v[142:143], v[154:155], v[142:143]
	v_fma_f64 v[241:242], v[243:244], s[16:17], v[237:238]
	v_fma_f64 v[154:155], v[243:244], s[16:17], -v[237:238]
	s_delay_alu instid0(VALU_DEP_2) | instskip(SKIP_1) | instid1(VALU_DEP_3)
	v_add_f64_e32 v[192:193], v[241:242], v[192:193]
	v_mul_f64_e32 v[241:242], s[18:19], v[148:149]
	v_add_f64_e32 v[150:151], v[154:155], v[150:151]
	s_delay_alu instid0(VALU_DEP_2) | instskip(SKIP_1) | instid1(VALU_DEP_2)
	v_fma_f64 v[245:246], v[183:184], s[22:23], v[241:242]
	v_fma_f64 v[154:155], v[183:184], s[34:35], v[241:242]
	v_add_f64_e32 v[146:147], v[245:246], v[146:147]
	v_mul_f64_e32 v[245:246], s[34:35], v[187:188]
	s_delay_alu instid0(VALU_DEP_3) | instskip(NEXT) | instid1(VALU_DEP_2)
	v_add_f64_e32 v[142:143], v[154:155], v[142:143]
	v_fma_f64 v[249:250], v[251:252], s[18:19], v[245:246]
	v_fma_f64 v[154:155], v[251:252], s[18:19], -v[245:246]
	s_delay_alu instid0(VALU_DEP_2) | instskip(SKIP_1) | instid1(VALU_DEP_3)
	v_add_f64_e32 v[192:193], v[249:250], v[192:193]
	v_mul_f64_e32 v[249:250], s[12:13], v[152:153]
	v_add_f64_e32 v[150:151], v[154:155], v[150:151]
	s_delay_alu instid0(VALU_DEP_2) | instskip(SKIP_1) | instid1(VALU_DEP_2)
	v_fma_f64 v[253:254], v[185:186], s[44:45], v[249:250]
	v_fma_f64 v[154:155], v[185:186], s[24:25], v[249:250]
	v_add_f64_e32 v[2:3], v[253:254], v[146:147]
	v_mul_f64_e32 v[146:147], s[24:25], v[189:190]
	s_delay_alu instid0(VALU_DEP_1) | instskip(SKIP_1) | instid1(VALU_DEP_2)
	v_fma_f64 v[253:254], v[144:145], s[12:13], v[146:147]
	v_fma_f64 v[146:147], v[144:145], s[12:13], -v[146:147]
	v_add_f64_e32 v[0:1], v[253:254], v[192:193]
	scratch_store_b128 off, v[0:3], off offset:196 ; 16-byte Folded Spill
	v_add_f64_e32 v[2:3], v[154:155], v[142:143]
	v_mul_f64_e32 v[142:143], s[12:13], v[162:163]
	v_add_f64_e32 v[0:1], v[146:147], v[150:151]
	v_mul_f64_e32 v[150:151], s[14:15], v[239:240]
	s_delay_alu instid0(VALU_DEP_3) | instskip(SKIP_1) | instid1(VALU_DEP_3)
	v_fma_f64 v[146:147], v[176:177], s[44:45], v[142:143]
	v_fma_f64 v[142:143], v[176:177], s[24:25], v[142:143]
	;; [unrolled: 1-line block ×4, first 2 shown]
	scratch_store_b128 off, v[0:3], off offset:220 ; 16-byte Folded Spill
	v_add_f64_e32 v[146:147], v[138:139], v[146:147]
	v_add_f64_e32 v[142:143], v[138:139], v[142:143]
	s_delay_alu instid0(VALU_DEP_2) | instskip(SKIP_1) | instid1(VALU_DEP_3)
	v_add_f64_e32 v[146:147], v[154:155], v[146:147]
	v_mul_f64_e32 v[154:155], s[24:25], v[172:173]
	v_add_f64_e32 v[142:143], v[150:151], v[142:143]
	s_delay_alu instid0(VALU_DEP_2) | instskip(SKIP_3) | instid1(VALU_DEP_4)
	v_fma_f64 v[192:193], v[158:159], s[12:13], v[154:155]
	v_fma_f64 v[150:151], v[158:159], s[12:13], -v[154:155]
	v_fma_f64 v[154:155], v[231:232], s[14:15], -v[194:195]
	v_mul_f64_e32 v[194:195], s[28:29], v[174:175]
	v_add_f64_e32 v[192:193], v[136:137], v[192:193]
	s_delay_alu instid0(VALU_DEP_4) | instskip(NEXT) | instid1(VALU_DEP_2)
	v_add_f64_e32 v[150:151], v[136:137], v[150:151]
	v_add_f64_e32 v[192:193], v[196:197], v[192:193]
	v_mul_f64_e32 v[196:197], s[18:19], v[247:248]
	s_delay_alu instid0(VALU_DEP_3) | instskip(NEXT) | instid1(VALU_DEP_2)
	v_add_f64_e32 v[150:151], v[154:155], v[150:151]
	v_fma_f64 v[198:199], v[166:167], s[22:23], v[196:197]
	v_fma_f64 v[154:155], v[166:167], s[34:35], v[196:197]
	;; [unrolled: 1-line block ×3, first 2 shown]
	s_delay_alu instid0(VALU_DEP_3) | instskip(SKIP_1) | instid1(VALU_DEP_4)
	v_add_f64_e32 v[146:147], v[198:199], v[146:147]
	v_mul_f64_e32 v[198:199], s[34:35], v[164:165]
	v_add_f64_e32 v[142:143], v[154:155], v[142:143]
	s_delay_alu instid0(VALU_DEP_2) | instskip(SKIP_1) | instid1(VALU_DEP_2)
	v_fma_f64 v[233:234], v[235:236], s[18:19], v[198:199]
	v_fma_f64 v[154:155], v[235:236], s[18:19], -v[198:199]
	v_add_f64_e32 v[192:193], v[233:234], v[192:193]
	v_mul_f64_e32 v[233:234], s[10:11], v[140:141]
	s_delay_alu instid0(VALU_DEP_3) | instskip(NEXT) | instid1(VALU_DEP_2)
	v_add_f64_e32 v[150:151], v[154:155], v[150:151]
	v_fma_f64 v[237:238], v[168:169], s[40:41], v[233:234]
	v_fma_f64 v[154:155], v[168:169], s[26:27], v[233:234]
	s_delay_alu instid0(VALU_DEP_2) | instskip(SKIP_1) | instid1(VALU_DEP_3)
	v_add_f64_e32 v[146:147], v[237:238], v[146:147]
	v_mul_f64_e32 v[237:238], s[26:27], v[170:171]
	v_add_f64_e32 v[142:143], v[154:155], v[142:143]
	s_delay_alu instid0(VALU_DEP_2) | instskip(SKIP_1) | instid1(VALU_DEP_2)
	v_fma_f64 v[241:242], v[243:244], s[10:11], v[237:238]
	v_fma_f64 v[154:155], v[243:244], s[10:11], -v[237:238]
	v_add_f64_e32 v[192:193], v[241:242], v[192:193]
	v_mul_f64_e32 v[241:242], s[16:17], v[148:149]
	s_delay_alu instid0(VALU_DEP_3) | instskip(NEXT) | instid1(VALU_DEP_2)
	v_add_f64_e32 v[150:151], v[154:155], v[150:151]
	v_fma_f64 v[245:246], v[183:184], s[28:29], v[241:242]
	v_fma_f64 v[154:155], v[183:184], s[38:39], v[241:242]
	s_delay_alu instid0(VALU_DEP_2) | instskip(SKIP_1) | instid1(VALU_DEP_3)
	v_add_f64_e32 v[146:147], v[245:246], v[146:147]
	v_mul_f64_e32 v[245:246], s[38:39], v[187:188]
	v_add_f64_e32 v[142:143], v[154:155], v[142:143]
	s_delay_alu instid0(VALU_DEP_2) | instskip(SKIP_1) | instid1(VALU_DEP_2)
	v_fma_f64 v[249:250], v[251:252], s[16:17], v[245:246]
	v_fma_f64 v[154:155], v[251:252], s[16:17], -v[245:246]
	v_add_f64_e32 v[192:193], v[249:250], v[192:193]
	v_mul_f64_e32 v[249:250], s[0:1], v[152:153]
	s_delay_alu instid0(VALU_DEP_3) | instskip(NEXT) | instid1(VALU_DEP_2)
	v_add_f64_e32 v[150:151], v[154:155], v[150:151]
	v_fma_f64 v[253:254], v[185:186], s[20:21], v[249:250]
	v_fma_f64 v[154:155], v[185:186], s[42:43], v[249:250]
	s_delay_alu instid0(VALU_DEP_2) | instskip(SKIP_1) | instid1(VALU_DEP_1)
	v_add_f64_e32 v[2:3], v[253:254], v[146:147]
	v_mul_f64_e32 v[146:147], s[42:43], v[189:190]
	v_fma_f64 v[253:254], v[144:145], s[0:1], v[146:147]
	v_fma_f64 v[146:147], v[144:145], s[0:1], -v[146:147]
	s_delay_alu instid0(VALU_DEP_2)
	v_add_f64_e32 v[0:1], v[253:254], v[192:193]
	scratch_store_b128 off, v[0:3], off offset:236 ; 16-byte Folded Spill
	v_add_f64_e32 v[2:3], v[154:155], v[142:143]
	v_mul_f64_e32 v[142:143], s[10:11], v[162:163]
	v_add_f64_e32 v[0:1], v[146:147], v[150:151]
	v_mul_f64_e32 v[150:151], s[16:17], v[239:240]
	s_delay_alu instid0(VALU_DEP_3) | instskip(SKIP_1) | instid1(VALU_DEP_3)
	v_fma_f64 v[146:147], v[176:177], s[40:41], v[142:143]
	v_fma_f64 v[142:143], v[176:177], s[26:27], v[142:143]
	;; [unrolled: 1-line block ×4, first 2 shown]
	scratch_store_b128 off, v[0:3], off offset:252 ; 16-byte Folded Spill
	v_dual_mov_b32 v0, v6 :: v_dual_mov_b32 v1, v7
	v_add_f64_e32 v[146:147], v[138:139], v[146:147]
	v_add_f64_e32 v[142:143], v[138:139], v[142:143]
	s_delay_alu instid0(VALU_DEP_2) | instskip(SKIP_1) | instid1(VALU_DEP_3)
	v_add_f64_e32 v[146:147], v[154:155], v[146:147]
	v_mul_f64_e32 v[154:155], s[26:27], v[172:173]
	v_add_f64_e32 v[142:143], v[150:151], v[142:143]
	s_delay_alu instid0(VALU_DEP_2) | instskip(SKIP_2) | instid1(VALU_DEP_3)
	v_fma_f64 v[192:193], v[158:159], s[10:11], v[154:155]
	v_fma_f64 v[150:151], v[158:159], s[10:11], -v[154:155]
	v_fma_f64 v[154:155], v[231:232], s[16:17], -v[194:195]
	v_add_f64_e32 v[192:193], v[136:137], v[192:193]
	s_delay_alu instid0(VALU_DEP_3) | instskip(NEXT) | instid1(VALU_DEP_2)
	v_add_f64_e32 v[150:151], v[136:137], v[150:151]
	v_add_f64_e32 v[192:193], v[196:197], v[192:193]
	v_mul_f64_e32 v[196:197], s[12:13], v[247:248]
	s_delay_alu instid0(VALU_DEP_3) | instskip(NEXT) | instid1(VALU_DEP_2)
	v_add_f64_e32 v[150:151], v[154:155], v[150:151]
	v_fma_f64 v[198:199], v[166:167], s[24:25], v[196:197]
	v_fma_f64 v[154:155], v[166:167], s[44:45], v[196:197]
	s_delay_alu instid0(VALU_DEP_2) | instskip(SKIP_1) | instid1(VALU_DEP_3)
	v_add_f64_e32 v[146:147], v[198:199], v[146:147]
	v_mul_f64_e32 v[198:199], s[44:45], v[164:165]
	v_add_f64_e32 v[142:143], v[154:155], v[142:143]
	v_mul_f64_e32 v[164:165], s[28:29], v[164:165]
	s_delay_alu instid0(VALU_DEP_3) | instskip(SKIP_2) | instid1(VALU_DEP_3)
	v_fma_f64 v[233:234], v[235:236], s[12:13], v[198:199]
	v_fma_f64 v[154:155], v[235:236], s[12:13], -v[198:199]
	v_mul_f64_e32 v[198:199], s[24:25], v[174:175]
	v_add_f64_e32 v[192:193], v[233:234], v[192:193]
	v_mul_f64_e32 v[233:234], s[18:19], v[140:141]
	s_delay_alu instid0(VALU_DEP_4) | instskip(NEXT) | instid1(VALU_DEP_4)
	v_add_f64_e32 v[150:151], v[154:155], v[150:151]
	v_fma_f64 v[174:175], v[231:232], s[12:13], v[198:199]
	s_delay_alu instid0(VALU_DEP_3) | instskip(SKIP_2) | instid1(VALU_DEP_3)
	v_fma_f64 v[237:238], v[168:169], s[22:23], v[233:234]
	v_fma_f64 v[154:155], v[168:169], s[34:35], v[233:234]
	v_mul_f64_e32 v[233:234], s[18:19], v[152:153]
	v_add_f64_e32 v[146:147], v[237:238], v[146:147]
	v_mul_f64_e32 v[237:238], s[34:35], v[170:171]
	s_delay_alu instid0(VALU_DEP_4) | instskip(SKIP_1) | instid1(VALU_DEP_3)
	v_add_f64_e32 v[142:143], v[154:155], v[142:143]
	v_mul_f64_e32 v[170:171], s[36:37], v[170:171]
	v_fma_f64 v[241:242], v[243:244], s[18:19], v[237:238]
	v_fma_f64 v[154:155], v[243:244], s[18:19], -v[237:238]
	s_delay_alu instid0(VALU_DEP_2) | instskip(SKIP_1) | instid1(VALU_DEP_3)
	v_add_f64_e32 v[192:193], v[241:242], v[192:193]
	v_mul_f64_e32 v[241:242], s[0:1], v[148:149]
	v_add_f64_e32 v[150:151], v[154:155], v[150:151]
	s_delay_alu instid0(VALU_DEP_2) | instskip(SKIP_2) | instid1(VALU_DEP_3)
	v_fma_f64 v[245:246], v[183:184], s[42:43], v[241:242]
	v_fma_f64 v[154:155], v[183:184], s[20:21], v[241:242]
	v_mov_b32_e32 v242, v202
	v_add_f64_e32 v[146:147], v[245:246], v[146:147]
	v_mul_f64_e32 v[245:246], s[20:21], v[187:188]
	s_delay_alu instid0(VALU_DEP_4) | instskip(SKIP_1) | instid1(VALU_DEP_3)
	v_add_f64_e32 v[142:143], v[154:155], v[142:143]
	v_mul_f64_e32 v[187:188], s[40:41], v[187:188]
	v_fma_f64 v[249:250], v[251:252], s[0:1], v[245:246]
	v_fma_f64 v[154:155], v[251:252], s[0:1], -v[245:246]
	s_delay_alu instid0(VALU_DEP_2) | instskip(SKIP_1) | instid1(VALU_DEP_3)
	v_add_f64_e32 v[192:193], v[249:250], v[192:193]
	v_mul_f64_e32 v[249:250], s[14:15], v[152:153]
	v_add_f64_e32 v[150:151], v[154:155], v[150:151]
	s_delay_alu instid0(VALU_DEP_2) | instskip(SKIP_3) | instid1(VALU_DEP_4)
	v_fma_f64 v[253:254], v[185:186], s[36:37], v[249:250]
	v_fma_f64 v[154:155], v[185:186], s[30:31], v[249:250]
	v_dual_mov_b32 v250, v191 :: v_dual_mov_b32 v249, v200
	v_mov_b32_e32 v191, v201
	v_add_f64_e32 v[4:5], v[253:254], v[146:147]
	v_mul_f64_e32 v[146:147], s[30:31], v[189:190]
	v_add_f64_e32 v[6:7], v[154:155], v[142:143]
	v_mul_f64_e32 v[142:143], s[0:1], v[162:163]
	v_mul_f64_e32 v[189:190], s[34:35], v[189:190]
	s_delay_alu instid0(VALU_DEP_4) | instskip(SKIP_1) | instid1(VALU_DEP_2)
	v_fma_f64 v[253:254], v[144:145], s[14:15], v[146:147]
	v_fma_f64 v[146:147], v[144:145], s[14:15], -v[146:147]
	v_add_f64_e32 v[2:3], v[253:254], v[192:193]
	scratch_store_b128 off, v[2:5], off offset:268 ; 16-byte Folded Spill
	v_add_f64_e32 v[4:5], v[146:147], v[150:151]
	v_fma_f64 v[146:147], v[176:177], s[42:43], v[142:143]
	v_mul_f64_e32 v[150:151], s[12:13], v[239:240]
	v_fma_f64 v[142:143], v[176:177], s[20:21], v[142:143]
	s_clause 0x2
	scratch_load_b32 v238, off, off offset:92
	scratch_load_b32 v237, off, off offset:88
	;; [unrolled: 1-line block ×3, first 2 shown]
	v_add_f64_e32 v[146:147], v[138:139], v[146:147]
	v_fma_f64 v[154:155], v[178:179], s[44:45], v[150:151]
	v_fma_f64 v[150:151], v[178:179], s[24:25], v[150:151]
	v_add_f64_e32 v[142:143], v[138:139], v[142:143]
	s_delay_alu instid0(VALU_DEP_3) | instskip(SKIP_1) | instid1(VALU_DEP_3)
	v_add_f64_e32 v[146:147], v[154:155], v[146:147]
	v_mul_f64_e32 v[154:155], s[16:17], v[247:248]
	v_add_f64_e32 v[142:143], v[150:151], v[142:143]
	s_delay_alu instid0(VALU_DEP_2) | instskip(NEXT) | instid1(VALU_DEP_1)
	v_fma_f64 v[192:193], v[166:167], s[38:39], v[154:155]
	v_add_f64_e32 v[146:147], v[192:193], v[146:147]
	v_mul_f64_e32 v[192:193], s[14:15], v[140:141]
	v_mul_f64_e32 v[140:141], s[12:13], v[140:141]
	s_delay_alu instid0(VALU_DEP_2) | instskip(SKIP_1) | instid1(VALU_DEP_2)
	v_fma_f64 v[194:195], v[168:169], s[30:31], v[192:193]
	v_fma_f64 v[150:151], v[168:169], s[36:37], v[192:193]
	v_add_f64_e32 v[146:147], v[194:195], v[146:147]
	v_mul_f64_e32 v[194:195], s[10:11], v[148:149]
	s_delay_alu instid0(VALU_DEP_1) | instskip(NEXT) | instid1(VALU_DEP_1)
	v_fma_f64 v[196:197], v[183:184], s[26:27], v[194:195]
	v_add_f64_e32 v[146:147], v[196:197], v[146:147]
	v_mul_f64_e32 v[196:197], s[20:21], v[172:173]
	s_delay_alu instid0(VALU_DEP_1) | instskip(NEXT) | instid1(VALU_DEP_1)
	v_fma_f64 v[172:173], v[158:159], s[0:1], v[196:197]
	v_add_f64_e32 v[172:173], v[136:137], v[172:173]
	s_delay_alu instid0(VALU_DEP_1) | instskip(SKIP_1) | instid1(VALU_DEP_1)
	v_add_f64_e32 v[172:173], v[174:175], v[172:173]
	v_fma_f64 v[174:175], v[235:236], s[16:17], v[164:165]
	v_add_f64_e32 v[172:173], v[174:175], v[172:173]
	v_fma_f64 v[174:175], v[243:244], s[14:15], v[170:171]
	s_delay_alu instid0(VALU_DEP_1) | instskip(SKIP_1) | instid1(VALU_DEP_1)
	v_add_f64_e32 v[172:173], v[174:175], v[172:173]
	v_fma_f64 v[174:175], v[251:252], s[10:11], v[187:188]
	v_add_f64_e32 v[172:173], v[174:175], v[172:173]
	v_fma_f64 v[174:175], v[185:186], s[22:23], v[233:234]
	;; [unrolled: 5-line block ×3, first 2 shown]
	v_fma_f64 v[154:155], v[231:232], s[12:13], -v[198:199]
	s_delay_alu instid0(VALU_DEP_2) | instskip(SKIP_1) | instid1(VALU_DEP_2)
	v_add_f64_e32 v[142:143], v[146:147], v[142:143]
	v_fma_f64 v[146:147], v[183:184], s[40:41], v[194:195]
	v_add_f64_e32 v[142:143], v[150:151], v[142:143]
	v_fma_f64 v[150:151], v[185:186], s[34:35], v[233:234]
	s_clause 0x2
	scratch_load_b32 v234, off, off offset:84
	scratch_load_b32 v233, off, off offset:80
	scratch_load_b64 v[2:3], off, off offset:308 th:TH_LOAD_LU
	v_add_f64_e32 v[142:143], v[146:147], v[142:143]
	v_fma_f64 v[146:147], v[158:159], s[0:1], -v[196:197]
	s_delay_alu instid0(VALU_DEP_2) | instskip(NEXT) | instid1(VALU_DEP_2)
	v_add_f64_e32 v[178:179], v[150:151], v[142:143]
	v_add_f64_e32 v[146:147], v[136:137], v[146:147]
	v_mul_f64_e32 v[142:143], s[18:19], v[162:163]
	v_add_f64_e32 v[150:151], v[138:139], v[225:226]
	s_delay_alu instid0(VALU_DEP_3) | instskip(SKIP_1) | instid1(VALU_DEP_4)
	v_add_f64_e32 v[146:147], v[154:155], v[146:147]
	v_fma_f64 v[154:155], v[235:236], s[16:17], -v[164:165]
	v_add_f64_e32 v[142:143], v[160:161], v[142:143]
	s_delay_alu instid0(VALU_DEP_2) | instskip(SKIP_1) | instid1(VALU_DEP_3)
	v_add_f64_e32 v[146:147], v[154:155], v[146:147]
	v_fma_f64 v[154:155], v[243:244], s[14:15], -v[170:171]
	v_add_f64_e32 v[142:143], v[138:139], v[142:143]
	v_mul_f64_e32 v[138:139], s[10:11], v[247:248]
	s_delay_alu instid0(VALU_DEP_3) | instskip(SKIP_1) | instid1(VALU_DEP_1)
	v_add_f64_e32 v[146:147], v[154:155], v[146:147]
	v_fma_f64 v[154:155], v[251:252], s[10:11], -v[187:188]
	v_add_f64_e32 v[146:147], v[154:155], v[146:147]
	v_fma_f64 v[154:155], v[144:145], s[18:19], -v[189:190]
	v_mul_f64_e32 v[144:145], s[16:17], v[144:145]
	s_delay_alu instid0(VALU_DEP_2) | instskip(SKIP_2) | instid1(VALU_DEP_2)
	v_add_f64_e32 v[176:177], v[154:155], v[146:147]
	v_mul_f64_e32 v[146:147], s[18:19], v[158:159]
	v_add_f64_e32 v[154:155], v[136:137], v[217:218]
	v_add_f64_e64 v[146:147], v[146:147], -v[156:157]
	s_delay_alu instid0(VALU_DEP_1) | instskip(SKIP_2) | instid1(VALU_DEP_1)
	v_add_f64_e32 v[146:147], v[136:137], v[146:147]
	v_mul_f64_e32 v[136:137], s[0:1], v[239:240]
	s_wait_loadcnt 0x0
	v_add_f64_e32 v[136:137], v[2:3], v[136:137]
	scratch_load_b64 v[2:3], off, off offset:284 th:TH_LOAD_LU ; 8-byte Folded Reload
	v_add_f64_e32 v[136:137], v[136:137], v[142:143]
	v_mul_f64_e32 v[142:143], s[10:11], v[235:236]
	s_wait_loadcnt 0x0
	v_add_f64_e32 v[138:139], v[2:3], v[138:139]
	scratch_load_b64 v[2:3], off, off offset:48 th:TH_LOAD_LU ; 8-byte Folded Reload
	;; [unrolled: 5-line block ×5, first 2 shown]
	s_wait_loadcnt 0x0
	v_add_f64_e64 v[138:139], v[138:139], -v[2:3]
	scratch_load_b64 v[2:3], off, off offset:292 th:TH_LOAD_LU ; 8-byte Folded Reload
	v_add_f64_e32 v[138:139], v[138:139], v[146:147]
	v_mul_f64_e32 v[146:147], s[12:13], v[243:244]
	s_delay_alu instid0(VALU_DEP_1) | instskip(SKIP_3) | instid1(VALU_DEP_1)
	v_add_f64_e64 v[146:147], v[146:147], -v[0:1]
	scratch_load_b64 v[0:1], off, off offset:40 th:TH_LOAD_LU ; 8-byte Folded Reload
	s_wait_loadcnt 0x1
	v_add_f64_e64 v[142:143], v[142:143], -v[2:3]
	v_add_f64_e32 v[138:139], v[142:143], v[138:139]
	v_mul_f64_e32 v[142:143], s[14:15], v[251:252]
	s_delay_alu instid0(VALU_DEP_2) | instskip(SKIP_1) | instid1(VALU_DEP_2)
	v_add_f64_e32 v[138:139], v[146:147], v[138:139]
	s_wait_loadcnt 0x0
	v_add_f64_e64 v[142:143], v[142:143], -v[0:1]
	scratch_load_b64 v[0:1], off, off offset:56 th:TH_LOAD_LU ; 8-byte Folded Reload
	v_add_f64_e32 v[142:143], v[142:143], v[138:139]
	v_add_f64_e32 v[138:139], v[140:141], v[136:137]
	;; [unrolled: 1-line block ×3, first 2 shown]
	s_delay_alu instid0(VALU_DEP_1) | instskip(NEXT) | instid1(VALU_DEP_1)
	v_add_f64_e32 v[140:141], v[140:141], v[221:222]
	v_add_f64_e32 v[140:141], v[140:141], v[223:224]
	s_delay_alu instid0(VALU_DEP_1) | instskip(NEXT) | instid1(VALU_DEP_1)
	v_add_f64_e32 v[140:141], v[140:141], v[227:228]
	v_add_f64_e32 v[140:141], v[140:141], v[229:230]
	s_delay_alu instid0(VALU_DEP_1) | instskip(SKIP_2) | instid1(VALU_DEP_1)
	v_add_f64_e32 v[140:141], v[140:141], v[219:220]
	s_wait_loadcnt 0x0
	v_add_f64_e64 v[144:145], v[144:145], -v[0:1]
	v_add_f64_e32 v[136:137], v[144:145], v[142:143]
	scratch_load_b64 v[144:145], off, off offset:212 th:TH_LOAD_LU ; 8-byte Folded Reload
	v_add_f64_e32 v[142:143], v[154:155], v[209:210]
	s_delay_alu instid0(VALU_DEP_1) | instskip(NEXT) | instid1(VALU_DEP_1)
	v_add_f64_e32 v[142:143], v[142:143], v[205:206]
	v_add_f64_e32 v[142:143], v[142:143], v[207:208]
	s_delay_alu instid0(VALU_DEP_1) | instskip(NEXT) | instid1(VALU_DEP_1)
	v_add_f64_e32 v[142:143], v[142:143], v[213:214]
	v_add_f64_e32 v[142:143], v[142:143], v[215:216]
	s_delay_alu instid0(VALU_DEP_1)
	v_add_f64_e32 v[142:143], v[142:143], v[203:204]
	s_wait_loadcnt 0x0
	v_add_f64_e32 v[140:141], v[140:141], v[144:145]
	scratch_load_b64 v[144:145], off, off offset:32 th:TH_LOAD_LU ; 8-byte Folded Reload
	s_wait_loadcnt 0x0
	v_add_f64_e32 v[142:143], v[142:143], v[144:145]
	scratch_load_b64 v[144:145], off, off offset:188 th:TH_LOAD_LU ; 8-byte Folded Reload
	;; [unrolled: 3-line block ×9, first 2 shown]
	s_wait_loadcnt 0x0
	v_add_f64_e32 v[140:141], v[144:145], v[140:141]
	v_lshl_add_u32 v144, v249, 4, v250
	ds_store_b128 v144, v[176:179] offset:384
	ds_store_b128 v144, v[4:7] offset:576
	scratch_load_b128 v[0:3], off, off offset:252 th:TH_LOAD_LU ; 16-byte Folded Reload
	s_wait_loadcnt 0x0
	ds_store_b128 v144, v[0:3] offset:768
	scratch_load_b128 v[0:3], off, off offset:220 th:TH_LOAD_LU ; 16-byte Folded Reload
	s_wait_loadcnt 0x0
	;; [unrolled: 3-line block ×7, first 2 shown]
	ds_store_b128 v144, v[0:3] offset:1920
	ds_store_b128 v144, v[172:175] offset:2112
	;; [unrolled: 1-line block ×3, first 2 shown]
	ds_store_b128 v255, v[140:143]
	ds_store_b128 v144, v[100:103] offset:2304
.LBB0_5:
	s_or_b32 exec_lo, exec_lo, s33
	global_wb scope:SCOPE_SE
	s_wait_storecnt_dscnt 0x0
	s_barrier_signal -1
	s_barrier_wait -1
	global_inv scope:SCOPE_SE
	global_load_b128 v[136:139], v[181:182], off offset:2496
	ds_load_b128 v[140:143], v255
	ds_load_b128 v[144:147], v255 offset:208
	v_lshlrev_b32_e32 v192, 4, v249
	s_add_nc_u64 s[0:1], s[8:9], 0x9c0
	s_mov_b32 s9, 0x3febb67a
	s_wait_loadcnt_dscnt 0x1
	v_mul_f64_e32 v[148:149], v[142:143], v[138:139]
	v_mul_f64_e32 v[150:151], v[140:141], v[138:139]
	s_delay_alu instid0(VALU_DEP_2) | instskip(NEXT) | instid1(VALU_DEP_2)
	v_fma_f64 v[138:139], v[140:141], v[136:137], -v[148:149]
	v_fma_f64 v[140:141], v[142:143], v[136:137], v[150:151]
	global_load_b128 v[148:151], v192, s[0:1] offset:832
	ds_load_b128 v[152:155], v255 offset:832
	ds_load_b128 v[156:159], v255 offset:1040
	s_clause 0x1
	global_load_b128 v[160:163], v192, s[0:1] offset:624
	global_load_b128 v[164:167], v192, s[0:1] offset:1664
	ds_load_b128 v[168:171], v255 offset:1664
	ds_load_b128 v[172:175], v255 offset:1872
	s_clause 0x2
	global_load_b128 v[176:179], v192, s[0:1] offset:1456
	global_load_b128 v[181:184], v192, s[0:1] offset:208
	;; [unrolled: 1-line block ×3, first 2 shown]
	s_wait_loadcnt_dscnt 0x503
	v_mul_f64_e32 v[136:137], v[154:155], v[150:151]
	v_mul_f64_e32 v[142:143], v[152:153], v[150:151]
	s_delay_alu instid0(VALU_DEP_2) | instskip(SKIP_2) | instid1(VALU_DEP_3)
	v_fma_f64 v[150:151], v[152:153], v[148:149], -v[136:137]
	s_wait_loadcnt_dscnt 0x301
	v_mul_f64_e32 v[136:137], v[170:171], v[166:167]
	v_fma_f64 v[152:153], v[154:155], v[148:149], v[142:143]
	v_mul_f64_e32 v[142:143], v[168:169], v[166:167]
	s_wait_loadcnt 0x1
	v_mul_f64_e32 v[148:149], v[144:145], v[183:184]
	s_delay_alu instid0(VALU_DEP_4) | instskip(SKIP_1) | instid1(VALU_DEP_4)
	v_fma_f64 v[166:167], v[168:169], v[164:165], -v[136:137]
	v_mul_f64_e32 v[136:137], v[146:147], v[183:184]
	v_fma_f64 v[168:169], v[170:171], v[164:165], v[142:143]
	s_delay_alu instid0(VALU_DEP_2)
	v_fma_f64 v[142:143], v[144:145], v[181:182], -v[136:137]
	v_fma_f64 v[144:145], v[146:147], v[181:182], v[148:149]
	s_clause 0x1
	global_load_b128 v[146:149], v192, s[0:1] offset:1040
	global_load_b128 v[181:184], v192, s[0:1] offset:1248
	s_wait_loadcnt 0x1
	v_mul_f64_e32 v[136:137], v[158:159], v[148:149]
	v_mul_f64_e32 v[148:149], v[156:157], v[148:149]
	s_delay_alu instid0(VALU_DEP_2) | instskip(NEXT) | instid1(VALU_DEP_2)
	v_fma_f64 v[154:155], v[156:157], v[146:147], -v[136:137]
	v_fma_f64 v[156:157], v[158:159], v[146:147], v[148:149]
	s_clause 0x1
	global_load_b128 v[146:149], v192, s[0:1] offset:1872
	global_load_b128 v[193:196], v192, s[0:1] offset:2080
	s_wait_loadcnt_dscnt 0x100
	v_mul_f64_e32 v[136:137], v[174:175], v[148:149]
	v_mul_f64_e32 v[148:149], v[172:173], v[148:149]
	s_delay_alu instid0(VALU_DEP_2) | instskip(NEXT) | instid1(VALU_DEP_2)
	v_fma_f64 v[170:171], v[172:173], v[146:147], -v[136:137]
	v_fma_f64 v[172:173], v[174:175], v[146:147], v[148:149]
	ds_load_b128 v[146:149], v255 offset:416
	ds_load_b128 v[197:200], v255 offset:624
	s_wait_dscnt 0x1
	v_mul_f64_e32 v[136:137], v[148:149], v[187:188]
	v_mul_f64_e32 v[158:159], v[146:147], v[187:188]
	s_delay_alu instid0(VALU_DEP_2) | instskip(NEXT) | instid1(VALU_DEP_2)
	v_fma_f64 v[146:147], v[146:147], v[185:186], -v[136:137]
	v_fma_f64 v[148:149], v[148:149], v[185:186], v[158:159]
	ds_load_b128 v[185:188], v255 offset:1248
	ds_load_b128 v[201:204], v255 offset:1456
	s_wait_dscnt 0x1
	v_mul_f64_e32 v[136:137], v[187:188], v[183:184]
	v_mul_f64_e32 v[158:159], v[185:186], v[183:184]
	s_wait_dscnt 0x0
	v_mul_f64_e32 v[164:165], v[201:202], v[178:179]
	s_delay_alu instid0(VALU_DEP_3) | instskip(NEXT) | instid1(VALU_DEP_3)
	v_fma_f64 v[183:184], v[185:186], v[181:182], -v[136:137]
	v_fma_f64 v[185:186], v[187:188], v[181:182], v[158:159]
	ds_load_b128 v[187:190], v255 offset:2080
	ds_load_b128 v[205:208], v255 offset:2288
	v_fma_f64 v[164:165], v[203:204], v[176:177], v[164:165]
	s_wait_loadcnt_dscnt 0x1
	v_mul_f64_e32 v[136:137], v[189:190], v[195:196]
	v_mul_f64_e32 v[158:159], v[187:188], v[195:196]
	s_delay_alu instid0(VALU_DEP_2) | instskip(SKIP_1) | instid1(VALU_DEP_3)
	v_fma_f64 v[187:188], v[187:188], v[193:194], -v[136:137]
	v_mul_f64_e32 v[136:137], v[199:200], v[162:163]
	v_fma_f64 v[189:190], v[189:190], v[193:194], v[158:159]
	v_mul_f64_e32 v[162:163], v[197:198], v[162:163]
	s_delay_alu instid0(VALU_DEP_3) | instskip(SKIP_1) | instid1(VALU_DEP_3)
	v_fma_f64 v[158:159], v[197:198], v[160:161], -v[136:137]
	v_mul_f64_e32 v[136:137], v[203:204], v[178:179]
	v_fma_f64 v[160:161], v[199:200], v[160:161], v[162:163]
	s_delay_alu instid0(VALU_DEP_2)
	v_fma_f64 v[162:163], v[201:202], v[176:177], -v[136:137]
	global_load_b128 v[174:177], v192, s[0:1] offset:2288
	s_mov_b32 s0, 0xe8584caa
	s_mov_b32 s1, 0xbfebb67a
	s_wait_alu 0xfffe
	s_mov_b32 s8, s0
	s_wait_loadcnt_dscnt 0x0
	v_mul_f64_e32 v[136:137], v[207:208], v[176:177]
	v_mul_f64_e32 v[178:179], v[205:206], v[176:177]
	s_delay_alu instid0(VALU_DEP_2) | instskip(NEXT) | instid1(VALU_DEP_2)
	v_fma_f64 v[176:177], v[205:206], v[174:175], -v[136:137]
	v_fma_f64 v[178:179], v[207:208], v[174:175], v[178:179]
	ds_store_b128 v255, v[138:141]
	ds_store_b128 v255, v[142:145] offset:208
	ds_store_b128 v255, v[150:153] offset:832
	;; [unrolled: 1-line block ×11, first 2 shown]
	global_wb scope:SCOPE_SE
	s_wait_dscnt 0x0
	s_barrier_signal -1
	s_barrier_wait -1
	global_inv scope:SCOPE_SE
	ds_load_b128 v[136:139], v255
	ds_load_b128 v[140:143], v255 offset:832
	ds_load_b128 v[144:147], v255 offset:1040
	;; [unrolled: 1-line block ×5, first 2 shown]
	s_wait_dscnt 0x4
	v_add_f64_e32 v[160:161], v[136:137], v[140:141]
	v_add_f64_e32 v[162:163], v[138:139], v[142:143]
	s_wait_dscnt 0x1
	v_add_f64_e32 v[176:177], v[140:141], v[152:153]
	v_add_f64_e32 v[178:179], v[142:143], v[154:155]
	v_add_f64_e64 v[181:182], v[142:143], -v[154:155]
	v_add_f64_e64 v[183:184], v[140:141], -v[152:153]
	s_wait_dscnt 0x0
	v_add_f64_e32 v[185:186], v[144:145], v[156:157]
	v_add_f64_e32 v[187:188], v[146:147], v[158:159]
	v_add_f64_e64 v[189:190], v[146:147], -v[158:159]
	v_add_f64_e64 v[192:193], v[144:145], -v[156:157]
	v_add_f64_e32 v[140:141], v[160:161], v[152:153]
	v_add_f64_e32 v[142:143], v[162:163], v[154:155]
	;; [unrolled: 1-line block ×4, first 2 shown]
	s_delay_alu instid0(VALU_DEP_2) | instskip(NEXT) | instid1(VALU_DEP_2)
	v_add_f64_e32 v[144:145], v[152:153], v[156:157]
	v_add_f64_e32 v[146:147], v[154:155], v[158:159]
	ds_load_b128 v[152:155], v255 offset:416
	ds_load_b128 v[156:159], v255 offset:1248
	;; [unrolled: 1-line block ×6, first 2 shown]
	global_wb scope:SCOPE_SE
	s_wait_dscnt 0x0
	s_barrier_signal -1
	s_barrier_wait -1
	global_inv scope:SCOPE_SE
	v_add_f64_e32 v[194:195], v[152:153], v[156:157]
	v_add_f64_e32 v[196:197], v[154:155], v[158:159]
	;; [unrolled: 1-line block ×4, first 2 shown]
	v_add_f64_e64 v[202:203], v[158:159], -v[170:171]
	v_add_f64_e64 v[204:205], v[156:157], -v[168:169]
	;; [unrolled: 1-line block ×4, first 2 shown]
	v_add_f64_e32 v[156:157], v[194:195], v[168:169]
	v_add_f64_e32 v[158:159], v[196:197], v[170:171]
	;; [unrolled: 1-line block ×6, first 2 shown]
	s_delay_alu instid0(VALU_DEP_4) | instskip(NEXT) | instid1(VALU_DEP_4)
	v_add_f64_e32 v[160:161], v[168:169], v[172:173]
	v_add_f64_e32 v[162:163], v[170:171], v[174:175]
	v_fma_f64 v[168:169], v[176:177], -0.5, v[136:137]
	v_fma_f64 v[170:171], v[178:179], -0.5, v[138:139]
	s_delay_alu instid0(VALU_DEP_2) | instskip(SKIP_1) | instid1(VALU_DEP_2)
	v_fma_f64 v[136:137], v[181:182], s[0:1], v[168:169]
	s_wait_alu 0xfffe
	v_fma_f64 v[138:139], v[183:184], s[8:9], v[170:171]
	v_fma_f64 v[168:169], v[181:182], s[8:9], v[168:169]
	v_fma_f64 v[170:171], v[183:184], s[0:1], v[170:171]
	ds_store_b128 v242, v[140:143]
	ds_store_b128 v242, v[136:139] offset:16
	ds_store_b128 v242, v[168:171] offset:32
	v_fma_f64 v[138:139], v[185:186], -0.5, v[148:149]
	v_fma_f64 v[142:143], v[187:188], -0.5, v[150:151]
	s_delay_alu instid0(VALU_DEP_2) | instskip(SKIP_1) | instid1(VALU_DEP_3)
	v_fma_f64 v[136:137], v[189:190], s[0:1], v[138:139]
	v_fma_f64 v[140:141], v[189:190], s[8:9], v[138:139]
	v_fma_f64 v[138:139], v[192:193], s[8:9], v[142:143]
	v_fma_f64 v[142:143], v[192:193], s[0:1], v[142:143]
	ds_store_b128 v241, v[144:147]
	ds_store_b128 v241, v[136:139] offset:16
	ds_store_b128 v241, v[140:143] offset:32
	v_fma_f64 v[138:139], v[198:199], -0.5, v[152:153]
	v_fma_f64 v[142:143], v[200:201], -0.5, v[154:155]
	s_delay_alu instid0(VALU_DEP_2) | instskip(SKIP_1) | instid1(VALU_DEP_3)
	v_fma_f64 v[136:137], v[202:203], s[0:1], v[138:139]
	;; [unrolled: 10-line block ×3, first 2 shown]
	v_fma_f64 v[140:141], v[206:207], s[8:9], v[138:139]
	v_fma_f64 v[138:139], v[208:209], s[8:9], v[142:143]
	;; [unrolled: 1-line block ×3, first 2 shown]
	ds_store_b128 v237, v[160:163]
	ds_store_b128 v237, v[136:139] offset:16
	ds_store_b128 v237, v[140:143] offset:32
	global_wb scope:SCOPE_SE
	s_wait_dscnt 0x0
	s_barrier_signal -1
	s_barrier_wait -1
	global_inv scope:SCOPE_SE
	ds_load_b128 v[136:139], v255 offset:624
	ds_load_b128 v[140:143], v255 offset:416
	s_wait_dscnt 0x1
	v_mul_f64_e32 v[144:145], v[86:87], v[138:139]
	v_mul_f64_e32 v[86:87], v[86:87], v[136:137]
	s_delay_alu instid0(VALU_DEP_2) | instskip(NEXT) | instid1(VALU_DEP_2)
	v_fma_f64 v[144:145], v[84:85], v[136:137], v[144:145]
	v_fma_f64 v[146:147], v[84:85], v[138:139], -v[86:87]
	ds_load_b128 v[84:87], v255 offset:1248
	ds_load_b128 v[136:139], v255 offset:1456
	s_wait_dscnt 0x1
	v_mul_f64_e32 v[148:149], v[82:83], v[86:87]
	v_mul_f64_e32 v[82:83], v[82:83], v[84:85]
	s_delay_alu instid0(VALU_DEP_2) | instskip(NEXT) | instid1(VALU_DEP_2)
	v_fma_f64 v[148:149], v[80:81], v[84:85], v[148:149]
	v_fma_f64 v[150:151], v[80:81], v[86:87], -v[82:83]
	;; [unrolled: 8-line block ×4, first 2 shown]
	v_mul_f64_e32 v[72:73], v[66:67], v[138:139]
	v_mul_f64_e32 v[66:67], v[66:67], v[136:137]
	s_delay_alu instid0(VALU_DEP_2) | instskip(NEXT) | instid1(VALU_DEP_2)
	v_fma_f64 v[78:79], v[64:65], v[136:137], v[72:73]
	v_fma_f64 v[136:137], v[64:65], v[138:139], -v[66:67]
	ds_load_b128 v[64:67], v255 offset:2080
	ds_load_b128 v[72:75], v255 offset:2288
	s_wait_dscnt 0x1
	v_mul_f64_e32 v[138:139], v[54:55], v[66:67]
	v_mul_f64_e32 v[54:55], v[54:55], v[64:65]
	s_delay_alu instid0(VALU_DEP_2) | instskip(NEXT) | instid1(VALU_DEP_2)
	v_fma_f64 v[138:139], v[52:53], v[64:65], v[138:139]
	v_fma_f64 v[64:65], v[52:53], v[66:67], -v[54:55]
	v_mul_f64_e32 v[52:53], v[70:71], v[82:83]
	s_delay_alu instid0(VALU_DEP_1) | instskip(SKIP_1) | instid1(VALU_DEP_1)
	v_fma_f64 v[66:67], v[68:69], v[80:81], v[52:53]
	v_mul_f64_e32 v[52:53], v[70:71], v[80:81]
	v_fma_f64 v[68:69], v[68:69], v[82:83], -v[52:53]
	v_mul_f64_e32 v[52:53], v[62:63], v[86:87]
	s_delay_alu instid0(VALU_DEP_1) | instskip(SKIP_1) | instid1(VALU_DEP_2)
	v_fma_f64 v[70:71], v[60:61], v[84:85], v[52:53]
	v_mul_f64_e32 v[52:53], v[62:63], v[84:85]
	v_add_f64_e64 v[166:167], v[140:141], -v[70:71]
	s_delay_alu instid0(VALU_DEP_2) | instskip(SKIP_2) | instid1(VALU_DEP_3)
	v_fma_f64 v[60:61], v[60:61], v[86:87], -v[52:53]
	s_wait_dscnt 0x0
	v_mul_f64_e32 v[52:53], v[58:59], v[74:75]
	v_fma_f64 v[140:141], v[140:141], 2.0, -v[166:167]
	s_delay_alu instid0(VALU_DEP_3) | instskip(NEXT) | instid1(VALU_DEP_3)
	v_add_f64_e64 v[168:169], v[142:143], -v[60:61]
	v_fma_f64 v[80:81], v[56:57], v[72:73], v[52:53]
	v_mul_f64_e32 v[52:53], v[58:59], v[72:73]
	s_delay_alu instid0(VALU_DEP_3) | instskip(NEXT) | instid1(VALU_DEP_2)
	v_fma_f64 v[142:143], v[142:143], 2.0, -v[168:169]
	v_fma_f64 v[82:83], v[56:57], v[74:75], -v[52:53]
	ds_load_b128 v[52:55], v255
	ds_load_b128 v[56:59], v255 offset:208
	global_wb scope:SCOPE_SE
	s_wait_dscnt 0x0
	s_barrier_signal -1
	s_barrier_wait -1
	global_inv scope:SCOPE_SE
	v_add_f64_e64 v[150:151], v[54:55], -v[150:151]
	v_add_f64_e64 v[158:159], v[56:57], -v[78:79]
	;; [unrolled: 1-line block ×4, first 2 shown]
	s_delay_alu instid0(VALU_DEP_4) | instskip(NEXT) | instid1(VALU_DEP_4)
	v_fma_f64 v[54:55], v[54:55], 2.0, -v[150:151]
	v_fma_f64 v[162:163], v[56:57], 2.0, -v[158:159]
	v_add_f64_e64 v[56:57], v[144:145], -v[152:153]
	v_fma_f64 v[164:165], v[58:59], 2.0, -v[160:161]
	v_add_f64_e64 v[58:59], v[146:147], -v[154:155]
	v_fma_f64 v[52:53], v[52:53], 2.0, -v[148:149]
	s_delay_alu instid0(VALU_DEP_4)
	v_fma_f64 v[70:71], v[144:145], 2.0, -v[56:57]
	v_add_f64_e64 v[62:63], v[150:151], -v[56:57]
	v_add_f64_e64 v[56:57], v[156:157], -v[138:139]
	v_fma_f64 v[78:79], v[146:147], 2.0, -v[58:59]
	v_add_f64_e32 v[60:61], v[148:149], v[58:59]
	v_add_f64_e64 v[58:59], v[76:77], -v[64:65]
	s_delay_alu instid0(VALU_DEP_4) | instskip(SKIP_2) | instid1(VALU_DEP_4)
	v_fma_f64 v[64:65], v[156:157], 2.0, -v[56:57]
	v_add_f64_e64 v[74:75], v[160:161], -v[56:57]
	v_add_f64_e64 v[56:57], v[52:53], -v[70:71]
	v_fma_f64 v[84:85], v[76:77], 2.0, -v[58:59]
	v_add_f64_e64 v[70:71], v[68:69], -v[82:83]
	v_add_f64_e32 v[72:73], v[158:159], v[58:59]
	v_add_f64_e64 v[58:59], v[54:55], -v[78:79]
	v_add_f64_e64 v[76:77], v[162:163], -v[64:65]
	;; [unrolled: 1-line block ×3, first 2 shown]
	v_fma_f64 v[52:53], v[52:53], 2.0, -v[56:57]
	v_add_f64_e64 v[78:79], v[164:165], -v[84:85]
	v_fma_f64 v[68:69], v[68:69], 2.0, -v[70:71]
	v_add_f64_e32 v[136:137], v[166:167], v[70:71]
	v_fma_f64 v[54:55], v[54:55], 2.0, -v[58:59]
	v_fma_f64 v[80:81], v[158:159], 2.0, -v[72:73]
	;; [unrolled: 1-line block ×4, first 2 shown]
	v_add_f64_e64 v[138:139], v[168:169], -v[64:65]
	v_fma_f64 v[64:65], v[148:149], 2.0, -v[60:61]
	v_add_f64_e64 v[86:87], v[142:143], -v[68:69]
	v_fma_f64 v[68:69], v[162:163], 2.0, -v[76:77]
	v_fma_f64 v[70:71], v[164:165], 2.0, -v[78:79]
	v_add_f64_e64 v[84:85], v[140:141], -v[66:67]
	v_fma_f64 v[66:67], v[150:151], 2.0, -v[62:63]
	v_fma_f64 v[146:147], v[142:143], 2.0, -v[86:87]
	;; [unrolled: 1-line block ×3, first 2 shown]
	s_delay_alu instid0(VALU_DEP_4)
	v_fma_f64 v[144:145], v[140:141], 2.0, -v[84:85]
	v_fma_f64 v[140:141], v[166:167], 2.0, -v[136:137]
	ds_store_b128 v234, v[60:63] offset:144
	ds_store_b128 v234, v[56:59] offset:96
	;; [unrolled: 1-line block ×3, first 2 shown]
	ds_store_b128 v234, v[52:55]
	ds_store_b128 v233, v[68:71]
	ds_store_b128 v233, v[80:83] offset:48
	ds_store_b128 v233, v[76:79] offset:96
	;; [unrolled: 1-line block ×3, first 2 shown]
	ds_store_b128 v191, v[144:147]
	ds_store_b128 v191, v[140:143] offset:48
	ds_store_b128 v191, v[84:87] offset:96
	;; [unrolled: 1-line block ×3, first 2 shown]
	global_wb scope:SCOPE_SE
	s_wait_dscnt 0x0
	s_barrier_signal -1
	s_barrier_wait -1
	global_inv scope:SCOPE_SE
	s_and_saveexec_b32 s0, vcc_lo
	s_cbranch_execz .LBB0_7
; %bb.6:
	ds_load_b128 v[52:55], v255
	ds_load_b128 v[64:67], v255 offset:192
	ds_load_b128 v[56:59], v255 offset:384
	;; [unrolled: 1-line block ×12, first 2 shown]
.LBB0_7:
	s_wait_alu 0xfffe
	s_or_b32 exec_lo, exec_lo, s0
	s_and_saveexec_b32 s33, vcc_lo
	s_cbranch_execz .LBB0_9
; %bb.8:
	s_wait_dscnt 0xb
	v_mul_f64_e32 v[148:149], v[90:91], v[64:65]
	s_mov_b32 s35, 0x3fddbe06
	s_mov_b32 s34, 0x4267c47c
	;; [unrolled: 1-line block ×14, first 2 shown]
	s_wait_alu 0xfffe
	s_mov_b32 s28, s18
	s_mov_b32 s24, s30
	;; [unrolled: 1-line block ×14, first 2 shown]
	s_delay_alu instid0(VALU_DEP_1) | instskip(SKIP_1) | instid1(VALU_DEP_1)
	v_fma_f64 v[148:149], v[88:89], v[66:67], -v[148:149]
	v_mul_f64_e32 v[66:67], v[90:91], v[66:67]
	v_fma_f64 v[150:151], v[88:89], v[64:65], v[66:67]
	s_wait_dscnt 0x8
	v_mul_f64_e32 v[88:89], v[114:115], v[70:71]
	s_wait_dscnt 0x6
	v_mul_f64_e32 v[64:65], v[130:131], v[78:79]
	v_mul_f64_e32 v[66:67], v[130:131], v[76:77]
	s_delay_alu instid0(VALU_DEP_3) | instskip(SKIP_1) | instid1(VALU_DEP_4)
	v_fma_f64 v[88:89], v[112:113], v[68:69], v[88:89]
	v_mul_f64_e32 v[68:69], v[114:115], v[68:69]
	v_fma_f64 v[64:65], v[128:129], v[76:77], v[64:65]
	s_delay_alu instid0(VALU_DEP_4) | instskip(SKIP_2) | instid1(VALU_DEP_4)
	v_fma_f64 v[76:77], v[128:129], v[78:79], -v[66:67]
	s_wait_dscnt 0x5
	v_mul_f64_e32 v[66:67], v[134:135], v[74:75]
	v_fma_f64 v[90:91], v[112:113], v[70:71], -v[68:69]
	v_mul_f64_e32 v[112:113], v[106:107], v[62:63]
	s_wait_dscnt 0x3
	v_mul_f64_e32 v[68:69], v[118:119], v[142:143]
	s_delay_alu instid0(VALU_DEP_4)
	v_fma_f64 v[66:67], v[132:133], v[72:73], v[66:67]
	v_mul_f64_e32 v[72:73], v[134:135], v[72:73]
	v_mul_f64_e32 v[70:71], v[118:119], v[140:141]
	v_fma_f64 v[112:113], v[104:105], v[60:61], v[112:113]
	v_mul_f64_e32 v[60:61], v[106:107], v[60:61]
	v_fma_f64 v[68:69], v[116:117], v[140:141], v[68:69]
	v_fma_f64 v[72:73], v[132:133], v[74:75], -v[72:73]
	v_mul_f64_e32 v[74:75], v[122:123], v[82:83]
	v_fma_f64 v[70:71], v[116:117], v[142:143], -v[70:71]
	v_add_f64_e32 v[219:220], v[66:67], v[64:65]
	v_fma_f64 v[104:105], v[104:105], v[62:63], -v[60:61]
	s_wait_dscnt 0x2
	v_mul_f64_e32 v[60:61], v[110:111], v[86:87]
	v_mul_f64_e32 v[62:63], v[110:111], v[84:85]
	v_fma_f64 v[78:79], v[120:121], v[80:81], v[74:75]
	v_mul_f64_e32 v[74:75], v[122:123], v[80:81]
	v_mul_f64_e32 v[80:81], v[126:127], v[144:145]
	v_add_f64_e32 v[203:204], v[90:91], v[70:71]
	v_add_f64_e32 v[205:206], v[88:89], v[68:69]
	;; [unrolled: 1-line block ×3, first 2 shown]
	v_fma_f64 v[60:61], v[108:109], v[84:85], v[60:61]
	v_mul_f64_e32 v[84:85], v[94:95], v[58:59]
	v_fma_f64 v[62:63], v[108:109], v[86:87], -v[62:63]
	v_fma_f64 v[82:83], v[120:121], v[82:83], -v[74:75]
	v_mul_f64_e32 v[74:75], v[126:127], v[146:147]
	v_fma_f64 v[80:81], v[124:125], v[146:147], -v[80:81]
	v_add_f64_e64 v[108:109], v[88:89], -v[68:69]
	v_add_f64_e64 v[126:127], v[112:113], -v[60:61]
	v_fma_f64 v[86:87], v[92:93], v[56:57], v[84:85]
	v_mul_f64_e32 v[56:57], v[94:95], v[56:57]
	v_add_f64_e64 v[94:95], v[64:65], -v[66:67]
	v_fma_f64 v[74:75], v[124:125], v[144:145], v[74:75]
	v_add_f64_e64 v[124:125], v[104:105], -v[62:63]
	v_mul_f64_e32 v[116:117], s[34:35], v[108:109]
	v_add_f64_e32 v[199:200], v[104:105], v[62:63]
	v_add_f64_e32 v[201:202], v[112:113], v[60:61]
	;; [unrolled: 1-line block ×3, first 2 shown]
	v_mul_f64_e32 v[120:121], s[34:35], v[126:127]
	v_fma_f64 v[92:93], v[92:93], v[58:59], -v[56:57]
	s_wait_dscnt 0x1
	v_mul_f64_e32 v[58:59], v[98:99], v[136:137]
	v_mul_f64_e32 v[56:57], v[98:99], v[138:139]
	v_add_f64_e64 v[98:99], v[76:77], -v[72:73]
	v_mul_f64_e32 v[122:123], s[34:35], v[124:125]
	v_mul_f64_e32 v[217:218], s[30:31], v[94:95]
	;; [unrolled: 1-line block ×3, first 2 shown]
	v_fma_f64 v[84:85], v[96:97], v[138:139], -v[58:59]
	s_wait_dscnt 0x0
	v_mul_f64_e32 v[58:59], v[50:51], v[102:103]
	v_fma_f64 v[56:57], v[96:97], v[136:137], v[56:57]
	v_mul_f64_e32 v[50:51], v[50:51], v[100:101]
	v_add_f64_e64 v[96:97], v[78:79], -v[74:75]
	v_mul_f64_e32 v[106:107], s[34:35], v[98:99]
	v_mul_f64_e32 v[221:222], s[30:31], v[98:99]
	;; [unrolled: 1-line block ×3, first 2 shown]
	v_add_f64_e64 v[110:111], v[92:93], -v[84:85]
	v_fma_f64 v[58:59], v[48:49], v[100:101], v[58:59]
	v_add_f64_e64 v[114:115], v[86:87], -v[56:57]
	v_fma_f64 v[48:49], v[48:49], v[102:103], -v[50:51]
	v_add_f64_e64 v[50:51], v[82:83], -v[80:81]
	v_add_f64_e64 v[102:103], v[90:91], -v[70:71]
	v_mul_f64_e32 v[144:145], s[34:35], v[96:97]
	v_mul_f64_e32 v[100:101], s[34:35], v[94:95]
	v_add_f64_e32 v[197:198], v[56:57], v[86:87]
	v_mul_f64_e32 v[138:139], s[34:35], v[110:111]
	v_add_f64_e64 v[128:129], v[150:151], -v[58:59]
	v_mul_f64_e32 v[136:137], s[34:35], v[114:115]
	v_add_f64_e32 v[152:153], v[48:49], v[148:149]
	v_mul_f64_e32 v[146:147], s[34:35], v[50:51]
	v_mul_f64_e32 v[118:119], s[34:35], v[102:103]
	s_mov_b32 s35, 0xbfddbe06
	v_add_f64_e32 v[176:177], v[58:59], v[150:151]
	v_mul_f64_e32 v[211:212], s[26:27], v[50:51]
	v_mul_f64_e32 v[130:131], s[20:21], v[128:129]
	;; [unrolled: 1-line block ×4, first 2 shown]
	s_wait_alu 0xfffe
	v_mul_f64_e32 v[140:141], s[24:25], v[128:129]
	v_mul_f64_e32 v[142:143], s[28:29], v[128:129]
	;; [unrolled: 1-line block ×3, first 2 shown]
	v_fma_f64 v[154:155], v[152:153], s[14:15], v[130:131]
	v_fma_f64 v[156:157], v[152:153], s[14:15], -v[130:131]
	v_fma_f64 v[158:159], v[152:153], s[8:9], v[132:133]
	v_fma_f64 v[132:133], v[152:153], s[8:9], -v[132:133]
	;; [unrolled: 2-line block ×6, first 2 shown]
	v_add_f64_e64 v[128:129], v[148:149], -v[48:49]
	v_add_f64_e32 v[158:159], v[54:55], v[158:159]
	v_add_f64_e32 v[160:161], v[54:55], v[160:161]
	;; [unrolled: 1-line block ×4, first 2 shown]
	v_mul_f64_e32 v[140:141], s[22:23], v[126:127]
	v_add_f64_e32 v[195:196], v[54:55], v[142:143]
	v_add_f64_e32 v[164:165], v[54:55], v[164:165]
	v_mul_f64_e32 v[130:131], s[20:21], v[128:129]
	v_mul_f64_e32 v[168:169], s[22:23], v[128:129]
	;; [unrolled: 1-line block ×6, first 2 shown]
	s_mov_b32 s35, 0x3fcea1e5
	s_mov_b32 s34, s20
	v_fma_f64 v[142:143], v[199:200], s[8:9], v[140:141]
	v_fma_f64 v[140:141], v[199:200], s[8:9], -v[140:141]
	v_fma_f64 v[178:179], v[176:177], s[14:15], -v[130:131]
	;; [unrolled: 1-line block ×4, first 2 shown]
	v_fma_f64 v[181:182], v[176:177], s[14:15], v[130:131]
	v_fma_f64 v[168:169], v[176:177], s[8:9], v[168:169]
	v_fma_f64 v[191:192], v[176:177], s[16:17], -v[128:129]
	v_fma_f64 v[170:171], v[176:177], s[0:1], v[170:171]
	v_fma_f64 v[187:188], v[176:177], s[10:11], -v[172:173]
	;; [unrolled: 2-line block ×3, first 2 shown]
	v_fma_f64 v[174:175], v[176:177], s[12:13], v[174:175]
	v_fma_f64 v[176:177], v[176:177], s[16:17], v[128:129]
	v_add_f64_e32 v[130:131], v[52:53], v[150:151]
	v_add_f64_e32 v[128:129], v[54:55], v[148:149]
	;; [unrolled: 1-line block ×21, first 2 shown]
	v_fma_f64 v[54:55], v[197:198], s[16:17], -v[138:139]
	v_fma_f64 v[138:139], v[197:198], s[16:17], v[138:139]
	v_add_f64_e32 v[86:87], v[86:87], v[130:131]
	v_fma_f64 v[52:53], v[191:192], s[16:17], v[136:137]
	v_fma_f64 v[136:137], v[191:192], s[16:17], -v[136:137]
	v_add_f64_e32 v[54:55], v[54:55], v[150:151]
	v_add_f64_e32 v[138:139], v[138:139], v[156:157]
	;; [unrolled: 1-line block ×5, first 2 shown]
	s_delay_alu instid0(VALU_DEP_3) | instskip(NEXT) | instid1(VALU_DEP_3)
	v_add_f64_e32 v[86:87], v[88:89], v[86:87]
	v_add_f64_e32 v[52:53], v[142:143], v[52:53]
	v_mul_f64_e32 v[142:143], s[22:23], v[124:125]
	s_delay_alu instid0(VALU_DEP_4) | instskip(NEXT) | instid1(VALU_DEP_2)
	v_add_f64_e32 v[136:137], v[140:141], v[136:137]
	v_fma_f64 v[148:149], v[201:202], s[8:9], -v[142:143]
	v_fma_f64 v[140:141], v[201:202], s[8:9], v[142:143]
	v_fma_f64 v[142:143], v[219:220], s[10:11], v[221:222]
	s_delay_alu instid0(VALU_DEP_3) | instskip(SKIP_1) | instid1(VALU_DEP_4)
	v_add_f64_e32 v[54:55], v[148:149], v[54:55]
	v_mul_f64_e32 v[148:149], s[18:19], v[108:109]
	v_add_f64_e32 v[138:139], v[140:141], v[138:139]
	s_delay_alu instid0(VALU_DEP_2) | instskip(SKIP_2) | instid1(VALU_DEP_3)
	v_fma_f64 v[150:151], v[203:204], s[12:13], v[148:149]
	v_fma_f64 v[140:141], v[203:204], s[12:13], -v[148:149]
	v_mul_f64_e32 v[148:149], s[30:31], v[114:115]
	v_add_f64_e32 v[52:53], v[150:151], v[52:53]
	v_mul_f64_e32 v[150:151], s[18:19], v[102:103]
	s_delay_alu instid0(VALU_DEP_4) | instskip(NEXT) | instid1(VALU_DEP_2)
	v_add_f64_e32 v[136:137], v[140:141], v[136:137]
	v_fma_f64 v[152:153], v[205:206], s[12:13], -v[150:151]
	v_fma_f64 v[140:141], v[205:206], s[12:13], v[150:151]
	v_mul_f64_e32 v[150:151], s[30:31], v[110:111]
	s_delay_alu instid0(VALU_DEP_3) | instskip(SKIP_1) | instid1(VALU_DEP_4)
	v_add_f64_e32 v[54:55], v[152:153], v[54:55]
	v_mul_f64_e32 v[152:153], s[26:27], v[96:97]
	v_add_f64_e32 v[138:139], v[140:141], v[138:139]
	s_delay_alu instid0(VALU_DEP_2) | instskip(SKIP_2) | instid1(VALU_DEP_3)
	v_fma_f64 v[209:210], v[207:208], s[0:1], v[152:153]
	v_fma_f64 v[140:141], v[207:208], s[0:1], -v[152:153]
	v_mul_f64_e32 v[152:153], s[28:29], v[126:127]
	v_add_f64_e32 v[52:53], v[209:210], v[52:53]
	v_add_f64_e32 v[209:210], v[74:75], v[78:79]
	s_delay_alu instid0(VALU_DEP_4) | instskip(NEXT) | instid1(VALU_DEP_4)
	v_add_f64_e32 v[136:137], v[140:141], v[136:137]
	v_fma_f64 v[154:155], v[199:200], s[12:13], v[152:153]
	v_fma_f64 v[152:153], v[199:200], s[12:13], -v[152:153]
	v_add_f64_e32 v[78:79], v[78:79], v[86:87]
	v_fma_f64 v[140:141], v[209:210], s[0:1], v[211:212]
	v_fma_f64 v[213:214], v[209:210], s[0:1], -v[211:212]
	v_mul_f64_e32 v[211:212], s[26:27], v[94:95]
	s_delay_alu instid0(VALU_DEP_4) | instskip(NEXT) | instid1(VALU_DEP_4)
	v_add_f64_e32 v[64:65], v[64:65], v[78:79]
	v_add_f64_e32 v[140:141], v[140:141], v[138:139]
	v_fma_f64 v[138:139], v[215:216], s[10:11], -v[217:218]
	v_add_f64_e32 v[213:214], v[213:214], v[54:55]
	v_fma_f64 v[54:55], v[215:216], s[10:11], v[217:218]
	v_add_f64_e32 v[64:65], v[66:67], v[64:65]
	s_delay_alu instid0(VALU_DEP_4)
	v_add_f64_e32 v[138:139], v[138:139], v[136:137]
	v_add_f64_e32 v[136:137], v[142:143], v[140:141]
	v_fma_f64 v[140:141], v[191:192], s[10:11], v[148:149]
	v_fma_f64 v[142:143], v[197:198], s[10:11], -v[150:151]
	v_fma_f64 v[148:149], v[191:192], s[10:11], -v[148:149]
	v_fma_f64 v[150:151], v[197:198], s[10:11], v[150:151]
	v_add_f64_e32 v[54:55], v[54:55], v[52:53]
	v_fma_f64 v[52:53], v[219:220], s[10:11], -v[221:222]
	v_add_f64_e32 v[64:65], v[74:75], v[64:65]
	v_add_f64_e32 v[140:141], v[140:141], v[158:159]
	;; [unrolled: 1-line block ×5, first 2 shown]
	v_mul_f64_e32 v[168:169], s[20:21], v[126:127]
	v_add_f64_e32 v[52:53], v[52:53], v[213:214]
	v_mul_f64_e32 v[213:214], s[26:27], v[98:99]
	v_mul_f64_e32 v[181:182], s[36:37], v[102:103]
	v_add_f64_e32 v[64:65], v[68:69], v[64:65]
	v_add_f64_e32 v[140:141], v[154:155], v[140:141]
	v_mul_f64_e32 v[154:155], s[28:29], v[124:125]
	v_add_f64_e32 v[148:149], v[152:153], v[148:149]
	s_delay_alu instid0(VALU_DEP_4) | instskip(NEXT) | instid1(VALU_DEP_3)
	v_add_f64_e32 v[60:61], v[60:61], v[64:65]
	v_fma_f64 v[156:157], v[201:202], s[12:13], -v[154:155]
	v_fma_f64 v[152:153], v[201:202], s[12:13], v[154:155]
	s_delay_alu instid0(VALU_DEP_3) | instskip(NEXT) | instid1(VALU_DEP_3)
	v_add_f64_e32 v[56:57], v[56:57], v[60:61]
	v_add_f64_e32 v[142:143], v[156:157], v[142:143]
	s_wait_alu 0xfffe
	v_mul_f64_e32 v[156:157], s[34:35], v[108:109]
	s_delay_alu instid0(VALU_DEP_4) | instskip(NEXT) | instid1(VALU_DEP_2)
	v_add_f64_e32 v[150:151], v[152:153], v[150:151]
	v_fma_f64 v[158:159], v[203:204], s[14:15], v[156:157]
	v_fma_f64 v[152:153], v[203:204], s[14:15], -v[156:157]
	v_mul_f64_e32 v[156:157], s[26:27], v[114:115]
	s_delay_alu instid0(VALU_DEP_3) | instskip(SKIP_1) | instid1(VALU_DEP_4)
	v_add_f64_e32 v[140:141], v[158:159], v[140:141]
	v_mul_f64_e32 v[158:159], s[34:35], v[102:103]
	v_add_f64_e32 v[148:149], v[152:153], v[148:149]
	s_delay_alu instid0(VALU_DEP_2) | instskip(SKIP_2) | instid1(VALU_DEP_3)
	v_fma_f64 v[178:179], v[205:206], s[14:15], -v[158:159]
	v_fma_f64 v[152:153], v[205:206], s[14:15], v[158:159]
	v_mul_f64_e32 v[158:159], s[26:27], v[110:111]
	v_add_f64_e32 v[142:143], v[178:179], v[142:143]
	v_fma_f64 v[178:179], v[207:208], s[16:17], v[144:145]
	s_delay_alu instid0(VALU_DEP_4) | instskip(SKIP_2) | instid1(VALU_DEP_4)
	v_add_f64_e32 v[150:151], v[152:153], v[150:151]
	v_fma_f64 v[144:145], v[207:208], s[16:17], -v[144:145]
	v_fma_f64 v[152:153], v[199:200], s[14:15], -v[168:169]
	v_add_f64_e32 v[140:141], v[178:179], v[140:141]
	v_fma_f64 v[178:179], v[209:210], s[16:17], -v[146:147]
	v_fma_f64 v[146:147], v[209:210], s[16:17], v[146:147]
	v_add_f64_e32 v[144:145], v[144:145], v[148:149]
	s_delay_alu instid0(VALU_DEP_3) | instskip(NEXT) | instid1(VALU_DEP_3)
	v_add_f64_e32 v[178:179], v[178:179], v[142:143]
	v_add_f64_e32 v[148:149], v[146:147], v[150:151]
	v_fma_f64 v[146:147], v[215:216], s[0:1], -v[211:212]
	v_fma_f64 v[150:151], v[219:220], s[0:1], v[213:214]
	v_fma_f64 v[142:143], v[215:216], s[0:1], v[211:212]
	v_mul_f64_e32 v[211:212], s[30:31], v[50:51]
	s_delay_alu instid0(VALU_DEP_4) | instskip(NEXT) | instid1(VALU_DEP_4)
	v_add_f64_e32 v[146:147], v[146:147], v[144:145]
	v_add_f64_e32 v[144:145], v[150:151], v[148:149]
	v_fma_f64 v[148:149], v[191:192], s[0:1], -v[156:157]
	v_fma_f64 v[150:151], v[197:198], s[0:1], v[158:159]
	v_add_f64_e32 v[142:143], v[142:143], v[140:141]
	v_fma_f64 v[140:141], v[219:220], s[0:1], -v[213:214]
	v_mul_f64_e32 v[213:214], s[20:21], v[114:115]
	v_add_f64_e32 v[148:149], v[148:149], v[195:196]
	v_add_f64_e32 v[150:151], v[150:151], v[174:175]
	v_mul_f64_e32 v[174:175], s[20:21], v[124:125]
	v_add_f64_e32 v[140:141], v[140:141], v[178:179]
	v_mul_f64_e32 v[178:179], s[36:37], v[108:109]
	v_mul_f64_e32 v[195:196], s[30:31], v[96:97]
	s_mov_b32 s31, 0x3fedeba7
	s_mov_b32 s30, s26
	v_add_f64_e32 v[148:149], v[152:153], v[148:149]
	v_fma_f64 v[152:153], v[201:202], s[14:15], v[174:175]
	s_delay_alu instid0(VALU_DEP_1) | instskip(SKIP_1) | instid1(VALU_DEP_1)
	v_add_f64_e32 v[150:151], v[152:153], v[150:151]
	v_fma_f64 v[152:153], v[203:204], s[8:9], -v[178:179]
	v_add_f64_e32 v[148:149], v[152:153], v[148:149]
	v_fma_f64 v[152:153], v[205:206], s[8:9], v[181:182]
	s_delay_alu instid0(VALU_DEP_1) | instskip(SKIP_1) | instid1(VALU_DEP_1)
	v_add_f64_e32 v[150:151], v[152:153], v[150:151]
	v_fma_f64 v[152:153], v[207:208], s[10:11], -v[195:196]
	v_add_f64_e32 v[148:149], v[152:153], v[148:149]
	v_fma_f64 v[152:153], v[209:210], s[10:11], v[211:212]
	s_delay_alu instid0(VALU_DEP_1) | instskip(SKIP_2) | instid1(VALU_DEP_2)
	v_add_f64_e32 v[152:153], v[152:153], v[150:151]
	v_fma_f64 v[150:151], v[215:216], s[16:17], -v[100:101]
	v_fma_f64 v[100:101], v[215:216], s[16:17], v[100:101]
	v_add_f64_e32 v[150:151], v[150:151], v[148:149]
	v_fma_f64 v[148:149], v[219:220], s[16:17], v[106:107]
	s_delay_alu instid0(VALU_DEP_1) | instskip(SKIP_1) | instid1(VALU_DEP_1)
	v_add_f64_e32 v[148:149], v[148:149], v[152:153]
	v_fma_f64 v[152:153], v[191:192], s[14:15], -v[213:214]
	v_add_f64_e32 v[152:153], v[152:153], v[193:194]
	v_mul_f64_e32 v[193:194], s[20:21], v[110:111]
	s_delay_alu instid0(VALU_DEP_1) | instskip(NEXT) | instid1(VALU_DEP_1)
	v_fma_f64 v[154:155], v[197:198], s[14:15], v[193:194]
	v_add_f64_e32 v[154:155], v[154:155], v[172:173]
	s_wait_alu 0xfffe
	v_mul_f64_e32 v[172:173], s[30:31], v[126:127]
	s_delay_alu instid0(VALU_DEP_1) | instskip(NEXT) | instid1(VALU_DEP_1)
	v_fma_f64 v[217:218], v[199:200], s[0:1], -v[172:173]
	v_add_f64_e32 v[152:153], v[217:218], v[152:153]
	v_mul_f64_e32 v[217:218], s[30:31], v[124:125]
	s_delay_alu instid0(VALU_DEP_1) | instskip(NEXT) | instid1(VALU_DEP_1)
	v_fma_f64 v[221:222], v[201:202], s[0:1], v[217:218]
	v_add_f64_e32 v[154:155], v[221:222], v[154:155]
	v_fma_f64 v[221:222], v[203:204], s[16:17], -v[116:117]
	s_delay_alu instid0(VALU_DEP_1) | instskip(SKIP_1) | instid1(VALU_DEP_1)
	v_add_f64_e32 v[152:153], v[221:222], v[152:153]
	v_fma_f64 v[221:222], v[205:206], s[16:17], v[118:119]
	v_add_f64_e32 v[154:155], v[221:222], v[154:155]
	v_mul_f64_e32 v[221:222], s[28:29], v[96:97]
	s_delay_alu instid0(VALU_DEP_1) | instskip(NEXT) | instid1(VALU_DEP_1)
	v_fma_f64 v[223:224], v[207:208], s[12:13], -v[221:222]
	v_add_f64_e32 v[152:153], v[223:224], v[152:153]
	v_mul_f64_e32 v[223:224], s[28:29], v[50:51]
	s_delay_alu instid0(VALU_DEP_1) | instskip(NEXT) | instid1(VALU_DEP_1)
	v_fma_f64 v[225:226], v[209:210], s[12:13], v[223:224]
	v_add_f64_e32 v[225:226], v[225:226], v[154:155]
	v_fma_f64 v[154:155], v[215:216], s[8:9], -v[227:228]
	s_delay_alu instid0(VALU_DEP_1) | instskip(SKIP_1) | instid1(VALU_DEP_1)
	v_add_f64_e32 v[154:155], v[154:155], v[152:153]
	v_fma_f64 v[152:153], v[219:220], s[8:9], v[229:230]
	v_add_f64_e32 v[152:153], v[152:153], v[225:226]
	v_mul_f64_e32 v[225:226], s[28:29], v[114:115]
	v_mul_f64_e32 v[114:115], s[36:37], v[114:115]
	s_delay_alu instid0(VALU_DEP_2) | instskip(NEXT) | instid1(VALU_DEP_1)
	v_fma_f64 v[231:232], v[191:192], s[12:13], -v[225:226]
	v_add_f64_e32 v[166:167], v[231:232], v[166:167]
	v_mul_f64_e32 v[231:232], s[28:29], v[110:111]
	v_mul_f64_e32 v[110:111], s[36:37], v[110:111]
	s_delay_alu instid0(VALU_DEP_2) | instskip(NEXT) | instid1(VALU_DEP_1)
	v_fma_f64 v[233:234], v[197:198], s[12:13], v[231:232]
	v_add_f64_e32 v[176:177], v[233:234], v[176:177]
	v_mul_f64_e32 v[233:234], s[24:25], v[126:127]
	s_delay_alu instid0(VALU_DEP_1) | instskip(SKIP_1) | instid1(VALU_DEP_2)
	v_fma_f64 v[126:127], v[199:200], s[10:11], -v[233:234]
	v_fma_f64 v[60:61], v[199:200], s[10:11], v[233:234]
	v_add_f64_e32 v[126:127], v[126:127], v[166:167]
	v_mul_f64_e32 v[166:167], s[24:25], v[124:125]
	s_delay_alu instid0(VALU_DEP_1) | instskip(NEXT) | instid1(VALU_DEP_1)
	v_fma_f64 v[124:125], v[201:202], s[10:11], v[166:167]
	v_add_f64_e32 v[124:125], v[124:125], v[176:177]
	v_mul_f64_e32 v[176:177], s[26:27], v[108:109]
	v_mul_f64_e32 v[108:109], s[24:25], v[108:109]
	s_delay_alu instid0(VALU_DEP_2) | instskip(SKIP_1) | instid1(VALU_DEP_2)
	v_fma_f64 v[235:236], v[203:204], s[0:1], -v[176:177]
	v_fma_f64 v[64:65], v[203:204], s[0:1], v[176:177]
	v_add_f64_e32 v[126:127], v[235:236], v[126:127]
	v_mul_f64_e32 v[235:236], s[26:27], v[102:103]
	v_mul_f64_e32 v[102:103], s[24:25], v[102:103]
	s_delay_alu instid0(VALU_DEP_2) | instskip(SKIP_1) | instid1(VALU_DEP_2)
	v_fma_f64 v[237:238], v[205:206], s[0:1], v[235:236]
	v_fma_f64 v[66:67], v[205:206], s[0:1], -v[235:236]
	v_add_f64_e32 v[124:125], v[237:238], v[124:125]
	v_mul_f64_e32 v[237:238], s[22:23], v[96:97]
	s_delay_alu instid0(VALU_DEP_1) | instskip(NEXT) | instid1(VALU_DEP_1)
	v_fma_f64 v[239:240], v[207:208], s[8:9], -v[237:238]
	v_add_f64_e32 v[126:127], v[239:240], v[126:127]
	v_mul_f64_e32 v[239:240], s[22:23], v[50:51]
	v_mul_f64_e32 v[50:51], s[34:35], v[50:51]
	s_delay_alu instid0(VALU_DEP_2) | instskip(NEXT) | instid1(VALU_DEP_1)
	v_fma_f64 v[241:242], v[209:210], s[8:9], v[239:240]
	v_add_f64_e32 v[124:125], v[241:242], v[124:125]
	v_mul_f64_e32 v[241:242], s[20:21], v[94:95]
	s_delay_alu instid0(VALU_DEP_1) | instskip(NEXT) | instid1(VALU_DEP_1)
	v_fma_f64 v[243:244], v[215:216], s[14:15], -v[241:242]
	v_add_f64_e32 v[126:127], v[243:244], v[126:127]
	v_mul_f64_e32 v[243:244], s[20:21], v[98:99]
	v_mul_f64_e32 v[98:99], s[18:19], v[98:99]
	s_delay_alu instid0(VALU_DEP_2) | instskip(NEXT) | instid1(VALU_DEP_1)
	v_fma_f64 v[245:246], v[219:220], s[14:15], v[243:244]
	v_add_f64_e32 v[124:125], v[245:246], v[124:125]
	v_fma_f64 v[245:246], v[191:192], s[8:9], -v[114:115]
	v_fma_f64 v[114:115], v[191:192], s[8:9], v[114:115]
	s_delay_alu instid0(VALU_DEP_2) | instskip(SKIP_1) | instid1(VALU_DEP_3)
	v_add_f64_e32 v[185:186], v[245:246], v[185:186]
	v_fma_f64 v[245:246], v[197:198], s[8:9], v[110:111]
	v_add_f64_e32 v[114:115], v[114:115], v[160:161]
	v_fma_f64 v[110:111], v[197:198], s[8:9], -v[110:111]
	s_delay_alu instid0(VALU_DEP_3) | instskip(SKIP_2) | instid1(VALU_DEP_4)
	v_add_f64_e32 v[170:171], v[245:246], v[170:171]
	v_fma_f64 v[245:246], v[199:200], s[16:17], -v[120:121]
	v_fma_f64 v[120:121], v[199:200], s[16:17], v[120:121]
	v_add_f64_e32 v[110:111], v[110:111], v[183:184]
	s_delay_alu instid0(VALU_DEP_3) | instskip(SKIP_1) | instid1(VALU_DEP_4)
	v_add_f64_e32 v[185:186], v[245:246], v[185:186]
	v_fma_f64 v[245:246], v[201:202], s[16:17], v[122:123]
	v_add_f64_e32 v[114:115], v[120:121], v[114:115]
	v_fma_f64 v[120:121], v[201:202], s[16:17], -v[122:123]
	s_delay_alu instid0(VALU_DEP_3) | instskip(SKIP_1) | instid1(VALU_DEP_3)
	v_add_f64_e32 v[170:171], v[245:246], v[170:171]
	v_fma_f64 v[245:246], v[203:204], s[10:11], -v[108:109]
	v_add_f64_e32 v[110:111], v[120:121], v[110:111]
	v_fma_f64 v[108:109], v[203:204], s[10:11], v[108:109]
	s_delay_alu instid0(VALU_DEP_3) | instskip(SKIP_2) | instid1(VALU_DEP_4)
	v_add_f64_e32 v[185:186], v[245:246], v[185:186]
	v_fma_f64 v[245:246], v[205:206], s[10:11], v[102:103]
	v_fma_f64 v[102:103], v[205:206], s[10:11], -v[102:103]
	v_add_f64_e32 v[108:109], v[108:109], v[114:115]
	v_fma_f64 v[114:115], v[219:220], s[8:9], -v[229:230]
	s_delay_alu instid0(VALU_DEP_4) | instskip(SKIP_2) | instid1(VALU_DEP_2)
	v_add_f64_e32 v[170:171], v[245:246], v[170:171]
	v_mul_f64_e32 v[245:246], s[34:35], v[96:97]
	v_add_f64_e32 v[102:103], v[102:103], v[110:111]
	v_fma_f64 v[96:97], v[207:208], s[14:15], -v[245:246]
	v_fma_f64 v[110:111], v[207:208], s[14:15], v[245:246]
	s_delay_alu instid0(VALU_DEP_2) | instskip(SKIP_2) | instid1(VALU_DEP_4)
	v_add_f64_e32 v[96:97], v[96:97], v[185:186]
	v_fma_f64 v[185:186], v[209:210], s[14:15], v[50:51]
	v_fma_f64 v[50:51], v[209:210], s[14:15], -v[50:51]
	v_add_f64_e32 v[108:109], v[110:111], v[108:109]
	s_delay_alu instid0(VALU_DEP_3) | instskip(SKIP_1) | instid1(VALU_DEP_4)
	v_add_f64_e32 v[170:171], v[185:186], v[170:171]
	v_mul_f64_e32 v[185:186], s[18:19], v[94:95]
	v_add_f64_e32 v[50:51], v[50:51], v[102:103]
	s_delay_alu instid0(VALU_DEP_2) | instskip(SKIP_1) | instid1(VALU_DEP_2)
	v_fma_f64 v[94:95], v[215:216], s[12:13], -v[185:186]
	v_fma_f64 v[102:103], v[215:216], s[12:13], v[185:186]
	v_add_f64_e32 v[96:97], v[94:95], v[96:97]
	v_fma_f64 v[94:95], v[219:220], s[12:13], v[98:99]
	v_fma_f64 v[98:99], v[219:220], s[12:13], -v[98:99]
	s_delay_alu instid0(VALU_DEP_4) | instskip(SKIP_1) | instid1(VALU_DEP_4)
	v_add_f64_e32 v[110:111], v[102:103], v[108:109]
	v_fma_f64 v[102:103], v[199:200], s[0:1], v[172:173]
	v_add_f64_e32 v[94:95], v[94:95], v[170:171]
	s_delay_alu instid0(VALU_DEP_4) | instskip(SKIP_2) | instid1(VALU_DEP_2)
	v_add_f64_e32 v[108:109], v[98:99], v[50:51]
	v_fma_f64 v[50:51], v[191:192], s[14:15], v[213:214]
	v_fma_f64 v[98:99], v[197:198], s[14:15], -v[193:194]
	v_add_f64_e32 v[50:51], v[50:51], v[162:163]
	s_delay_alu instid0(VALU_DEP_2) | instskip(NEXT) | instid1(VALU_DEP_2)
	v_add_f64_e32 v[98:99], v[98:99], v[187:188]
	v_add_f64_e32 v[50:51], v[102:103], v[50:51]
	v_fma_f64 v[102:103], v[201:202], s[0:1], -v[217:218]
	s_delay_alu instid0(VALU_DEP_1) | instskip(SKIP_1) | instid1(VALU_DEP_1)
	v_add_f64_e32 v[98:99], v[102:103], v[98:99]
	v_fma_f64 v[102:103], v[203:204], s[16:17], v[116:117]
	v_add_f64_e32 v[50:51], v[102:103], v[50:51]
	v_fma_f64 v[102:103], v[205:206], s[16:17], -v[118:119]
	s_delay_alu instid0(VALU_DEP_1) | instskip(SKIP_1) | instid1(VALU_DEP_1)
	v_add_f64_e32 v[98:99], v[102:103], v[98:99]
	v_fma_f64 v[102:103], v[207:208], s[12:13], v[221:222]
	v_add_f64_e32 v[50:51], v[102:103], v[50:51]
	v_fma_f64 v[102:103], v[209:210], s[12:13], -v[223:224]
	s_delay_alu instid0(VALU_DEP_1) | instskip(SKIP_1) | instid1(VALU_DEP_2)
	v_add_f64_e32 v[98:99], v[102:103], v[98:99]
	v_fma_f64 v[102:103], v[215:216], s[8:9], v[227:228]
	v_add_f64_e32 v[114:115], v[114:115], v[98:99]
	s_delay_alu instid0(VALU_DEP_2) | instskip(SKIP_3) | instid1(VALU_DEP_3)
	v_add_f64_e32 v[116:117], v[102:103], v[50:51]
	v_fma_f64 v[50:51], v[191:192], s[0:1], v[156:157]
	v_fma_f64 v[98:99], v[197:198], s[0:1], -v[158:159]
	v_fma_f64 v[102:103], v[199:200], s[14:15], v[168:169]
	v_add_f64_e32 v[50:51], v[50:51], v[164:165]
	s_delay_alu instid0(VALU_DEP_3) | instskip(NEXT) | instid1(VALU_DEP_2)
	v_add_f64_e32 v[98:99], v[98:99], v[189:190]
	v_add_f64_e32 v[50:51], v[102:103], v[50:51]
	v_fma_f64 v[102:103], v[201:202], s[14:15], -v[174:175]
	s_delay_alu instid0(VALU_DEP_1) | instskip(SKIP_1) | instid1(VALU_DEP_1)
	v_add_f64_e32 v[98:99], v[102:103], v[98:99]
	v_fma_f64 v[102:103], v[203:204], s[8:9], v[178:179]
	v_add_f64_e32 v[50:51], v[102:103], v[50:51]
	v_fma_f64 v[102:103], v[205:206], s[8:9], -v[181:182]
	s_delay_alu instid0(VALU_DEP_1) | instskip(SKIP_1) | instid1(VALU_DEP_1)
	v_add_f64_e32 v[98:99], v[102:103], v[98:99]
	v_fma_f64 v[102:103], v[207:208], s[10:11], v[195:196]
	v_add_f64_e32 v[50:51], v[102:103], v[50:51]
	v_fma_f64 v[102:103], v[209:210], s[10:11], -v[211:212]
	s_delay_alu instid0(VALU_DEP_2) | instskip(SKIP_1) | instid1(VALU_DEP_3)
	v_add_f64_e32 v[100:101], v[100:101], v[50:51]
	v_add_f64_e32 v[50:51], v[92:93], v[128:129]
	;; [unrolled: 1-line block ×3, first 2 shown]
	v_fma_f64 v[102:103], v[219:220], s[16:17], -v[106:107]
	s_delay_alu instid0(VALU_DEP_3) | instskip(NEXT) | instid1(VALU_DEP_2)
	v_add_f64_e32 v[50:51], v[104:105], v[50:51]
	v_add_f64_e32 v[98:99], v[102:103], v[98:99]
	s_delay_alu instid0(VALU_DEP_2) | instskip(NEXT) | instid1(VALU_DEP_1)
	v_add_f64_e32 v[50:51], v[90:91], v[50:51]
	v_add_f64_e32 v[50:51], v[82:83], v[50:51]
	s_delay_alu instid0(VALU_DEP_1) | instskip(NEXT) | instid1(VALU_DEP_1)
	v_add_f64_e32 v[50:51], v[76:77], v[50:51]
	v_add_f64_e32 v[50:51], v[72:73], v[50:51]
	s_delay_alu instid0(VALU_DEP_1) | instskip(NEXT) | instid1(VALU_DEP_1)
	v_add_f64_e32 v[50:51], v[80:81], v[50:51]
	v_add_f64_e32 v[50:51], v[70:71], v[50:51]
	s_delay_alu instid0(VALU_DEP_1) | instskip(SKIP_1) | instid1(VALU_DEP_2)
	v_add_f64_e32 v[50:51], v[62:63], v[50:51]
	v_fma_f64 v[62:63], v[201:202], s[10:11], -v[166:167]
	v_add_f64_e32 v[50:51], v[84:85], v[50:51]
	s_delay_alu instid0(VALU_DEP_1)
	v_add_f64_e32 v[50:51], v[48:49], v[50:51]
	v_add_f64_e32 v[48:49], v[58:59], v[56:57]
	v_fma_f64 v[56:57], v[191:192], s[12:13], v[225:226]
	v_fma_f64 v[58:59], v[197:198], s[12:13], -v[231:232]
	ds_store_b128 v255, v[48:51]
	v_add_f64_e32 v[56:57], v[56:57], v[132:133]
	v_add_f64_e32 v[58:59], v[58:59], v[134:135]
	v_lshl_add_u32 v48, v249, 4, v250
	s_delay_alu instid0(VALU_DEP_3) | instskip(NEXT) | instid1(VALU_DEP_3)
	v_add_f64_e32 v[56:57], v[60:61], v[56:57]
	v_add_f64_e32 v[58:59], v[62:63], v[58:59]
	v_fma_f64 v[60:61], v[207:208], s[8:9], v[237:238]
	v_fma_f64 v[62:63], v[209:210], s[8:9], -v[239:240]
	s_delay_alu instid0(VALU_DEP_4) | instskip(NEXT) | instid1(VALU_DEP_4)
	v_add_f64_e32 v[56:57], v[64:65], v[56:57]
	v_add_f64_e32 v[58:59], v[66:67], v[58:59]
	v_fma_f64 v[64:65], v[215:216], s[14:15], v[241:242]
	v_fma_f64 v[66:67], v[219:220], s[14:15], -v[243:244]
	s_delay_alu instid0(VALU_DEP_4) | instskip(NEXT) | instid1(VALU_DEP_4)
	v_add_f64_e32 v[56:57], v[60:61], v[56:57]
	v_add_f64_e32 v[60:61], v[62:63], v[58:59]
	s_delay_alu instid0(VALU_DEP_2) | instskip(NEXT) | instid1(VALU_DEP_2)
	v_add_f64_e32 v[58:59], v[64:65], v[56:57]
	v_add_f64_e32 v[56:57], v[66:67], v[60:61]
	ds_store_b128 v48, v[124:127] offset:192
	ds_store_b128 v48, v[148:151] offset:384
	;; [unrolled: 1-line block ×12, first 2 shown]
.LBB0_9:
	s_or_b32 exec_lo, exec_lo, s33
	global_wb scope:SCOPE_SE
	s_wait_dscnt 0x0
	s_barrier_signal -1
	s_barrier_wait -1
	global_inv scope:SCOPE_SE
	ds_load_b128 v[48:51], v255
	ds_load_b128 v[52:55], v255 offset:832
	ds_load_b128 v[56:59], v255 offset:1664
	scratch_load_b128 v[0:3], off, off th:TH_LOAD_LU ; 16-byte Folded Reload
	ds_load_b128 v[60:63], v255 offset:208
	ds_load_b128 v[64:67], v255 offset:1040
	;; [unrolled: 1-line block ×8, first 2 shown]
	scratch_load_b128 v[4:7], off, off offset:16 th:TH_LOAD_LU ; 16-byte Folded Reload
	v_mad_co_u64_u32 v[96:97], null, s6, v180, 0
	v_mad_co_u64_u32 v[98:99], null, s4, v249, 0
	ds_load_b128 v[92:95], v255 offset:2288
	s_mov_b32 s0, 0x1a41a41a
	s_mov_b32 s1, 0x3f7a41a4
	s_mul_u64 s[8:9], s[4:5], 0x340
	v_mad_co_u64_u32 v[110:111], null, s7, v180, v[97:98]
	s_wait_dscnt 0xa
	v_mul_f64_e32 v[102:103], v[10:11], v[54:55]
	v_mul_f64_e32 v[10:11], v[10:11], v[52:53]
	s_wait_dscnt 0x9
	v_mul_f64_e32 v[104:105], v[18:19], v[58:59]
	v_mul_f64_e32 v[18:19], v[18:19], v[56:57]
	;; [unrolled: 3-line block ×4, first 2 shown]
	v_mul_f64_e32 v[116:117], v[26:27], v[74:75]
	v_mul_f64_e32 v[26:27], v[26:27], v[72:73]
	;; [unrolled: 1-line block ×4, first 2 shown]
	s_wait_dscnt 0x2
	v_mul_f64_e32 v[120:121], v[38:39], v[86:87]
	v_mul_f64_e32 v[38:39], v[38:39], v[84:85]
	s_wait_dscnt 0x1
	v_mul_f64_e32 v[122:123], v[42:43], v[90:91]
	v_mul_f64_e32 v[42:43], v[42:43], v[88:89]
	s_wait_dscnt 0x0
	v_mul_f64_e32 v[124:125], v[46:47], v[94:95]
	v_mul_f64_e32 v[46:47], v[46:47], v[92:93]
	v_mov_b32_e32 v97, v110
	s_movk_i32 s6, 0xfa50
	s_mov_b32 s7, -1
	v_fma_f64 v[38:39], v[36:37], v[86:87], -v[38:39]
	v_fma_f64 v[42:43], v[40:41], v[90:91], -v[42:43]
	s_delay_alu instid0(VALU_DEP_4) | instskip(SKIP_1) | instid1(VALU_DEP_3)
	v_fma_f64 v[46:47], v[44:45], v[94:95], -v[46:47]
	s_wait_alu 0xfffe
	v_mul_f64_e32 v[38:39], s[0:1], v[38:39]
	s_delay_alu instid0(VALU_DEP_3) | instskip(NEXT) | instid1(VALU_DEP_3)
	v_mul_f64_e32 v[42:43], s[0:1], v[42:43]
	v_mul_f64_e32 v[46:47], s[0:1], v[46:47]
	s_wait_loadcnt 0x1
	v_mul_f64_e32 v[100:101], v[2:3], v[50:51]
	v_mul_f64_e32 v[2:3], v[2:3], v[48:49]
	s_wait_loadcnt 0x0
	v_mul_f64_e32 v[106:107], v[6:7], v[62:63]
	v_mul_f64_e32 v[6:7], v[6:7], v[60:61]
	s_delay_alu instid0(VALU_DEP_4)
	v_mad_co_u64_u32 v[111:112], null, s5, v249, v[99:100]
	v_mul_f64_e32 v[112:113], v[22:23], v[70:71]
	v_mul_f64_e32 v[22:23], v[22:23], v[68:69]
	v_fma_f64 v[48:49], v[0:1], v[48:49], v[100:101]
	v_fma_f64 v[2:3], v[0:1], v[50:51], -v[2:3]
	v_fma_f64 v[50:51], v[8:9], v[52:53], v[102:103]
	v_fma_f64 v[8:9], v[8:9], v[54:55], -v[10:11]
	;; [unrolled: 2-line block ×3, first 2 shown]
	v_mov_b32_e32 v99, v111
	v_lshlrev_b64_e32 v[0:1], 4, v[96:97]
	v_fma_f64 v[52:53], v[4:5], v[60:61], v[106:107]
	v_fma_f64 v[54:55], v[4:5], v[62:63], -v[6:7]
	v_fma_f64 v[56:57], v[12:13], v[64:65], v[108:109]
	v_fma_f64 v[58:59], v[12:13], v[66:67], -v[14:15]
	v_lshlrev_b64_e32 v[18:19], 4, v[98:99]
	v_fma_f64 v[64:65], v[32:33], v[80:81], v[114:115]
	v_fma_f64 v[32:33], v[32:33], v[82:83], -v[34:35]
	v_add_co_u32 v0, vcc_lo, s2, v0
	s_wait_alu 0xfffd
	v_add_co_ci_u32_e32 v1, vcc_lo, s3, v1, vcc_lo
	v_fma_f64 v[34:35], v[24:25], v[72:73], v[116:117]
	v_fma_f64 v[66:67], v[24:25], v[74:75], -v[26:27]
	v_fma_f64 v[72:73], v[36:37], v[84:85], v[120:121]
	v_add_co_u32 v60, vcc_lo, v0, v18
	v_fma_f64 v[74:75], v[40:41], v[88:89], v[122:123]
	s_wait_alu 0xfffd
	v_add_co_ci_u32_e32 v61, vcc_lo, v1, v19, vcc_lo
	s_mul_u64 s[4:5], s[4:5], s[6:7]
	v_fma_f64 v[62:63], v[20:21], v[68:69], v[112:113]
	v_fma_f64 v[22:23], v[20:21], v[70:71], -v[22:23]
	v_fma_f64 v[68:69], v[28:29], v[76:77], v[118:119]
	v_fma_f64 v[70:71], v[28:29], v[78:79], -v[30:31]
	v_fma_f64 v[76:77], v[44:45], v[92:93], v[124:125]
	v_mul_f64_e32 v[0:1], s[0:1], v[48:49]
	v_mul_f64_e32 v[2:3], s[0:1], v[2:3]
	;; [unrolled: 1-line block ×4, first 2 shown]
	v_add_co_u32 v48, vcc_lo, v60, s8
	s_wait_alu 0xfffd
	v_add_co_ci_u32_e32 v49, vcc_lo, s9, v61, vcc_lo
	v_mul_f64_e32 v[8:9], s[0:1], v[10:11]
	v_mul_f64_e32 v[10:11], s[0:1], v[16:17]
	v_add_co_u32 v50, vcc_lo, v48, s8
	s_wait_alu 0xfffd
	v_add_co_ci_u32_e32 v51, vcc_lo, s9, v49, vcc_lo
	v_mul_f64_e32 v[12:13], s[0:1], v[52:53]
	v_mul_f64_e32 v[14:15], s[0:1], v[54:55]
	;; [unrolled: 1-line block ×4, first 2 shown]
	s_wait_alu 0xfffe
	v_add_co_u32 v52, vcc_lo, v50, s4
	s_wait_alu 0xfffd
	v_add_co_ci_u32_e32 v53, vcc_lo, s5, v51, vcc_lo
	v_mul_f64_e32 v[24:25], s[0:1], v[64:65]
	v_mul_f64_e32 v[26:27], s[0:1], v[32:33]
	v_add_co_u32 v54, vcc_lo, v52, s8
	v_mul_f64_e32 v[28:29], s[0:1], v[34:35]
	v_mul_f64_e32 v[30:31], s[0:1], v[66:67]
	s_wait_alu 0xfffd
	v_add_co_ci_u32_e32 v55, vcc_lo, s9, v53, vcc_lo
	v_mul_f64_e32 v[36:37], s[0:1], v[72:73]
	v_mul_f64_e32 v[40:41], s[0:1], v[74:75]
	;; [unrolled: 1-line block ×7, first 2 shown]
	global_store_b128 v[60:61], v[0:3], off
	v_add_co_u32 v0, vcc_lo, v54, s8
	s_wait_alu 0xfffd
	v_add_co_ci_u32_e32 v1, vcc_lo, s9, v55, vcc_lo
	global_store_b128 v[48:49], v[4:7], off
	v_add_co_u32 v2, vcc_lo, v0, s4
	s_wait_alu 0xfffd
	v_add_co_ci_u32_e32 v3, vcc_lo, s5, v1, vcc_lo
	;; [unrolled: 4-line block ×7, first 2 shown]
	global_store_b128 v[4:5], v[28:31], off
	global_store_b128 v[6:7], v[32:35], off
	;; [unrolled: 1-line block ×5, first 2 shown]
.LBB0_10:
	s_nop 0
	s_sendmsg sendmsg(MSG_DEALLOC_VGPRS)
	s_endpgm
	.section	.rodata,"a",@progbits
	.p2align	6, 0x0
	.amdhsa_kernel bluestein_single_fwd_len156_dim1_dp_op_CI_CI
		.amdhsa_group_segment_fixed_size 22464
		.amdhsa_private_segment_fixed_size 320
		.amdhsa_kernarg_size 104
		.amdhsa_user_sgpr_count 2
		.amdhsa_user_sgpr_dispatch_ptr 0
		.amdhsa_user_sgpr_queue_ptr 0
		.amdhsa_user_sgpr_kernarg_segment_ptr 1
		.amdhsa_user_sgpr_dispatch_id 0
		.amdhsa_user_sgpr_private_segment_size 0
		.amdhsa_wavefront_size32 1
		.amdhsa_uses_dynamic_stack 0
		.amdhsa_enable_private_segment 1
		.amdhsa_system_sgpr_workgroup_id_x 1
		.amdhsa_system_sgpr_workgroup_id_y 0
		.amdhsa_system_sgpr_workgroup_id_z 0
		.amdhsa_system_sgpr_workgroup_info 0
		.amdhsa_system_vgpr_workitem_id 0
		.amdhsa_next_free_vgpr 256
		.amdhsa_next_free_sgpr 46
		.amdhsa_reserve_vcc 1
		.amdhsa_float_round_mode_32 0
		.amdhsa_float_round_mode_16_64 0
		.amdhsa_float_denorm_mode_32 3
		.amdhsa_float_denorm_mode_16_64 3
		.amdhsa_fp16_overflow 0
		.amdhsa_workgroup_processor_mode 1
		.amdhsa_memory_ordered 1
		.amdhsa_forward_progress 0
		.amdhsa_round_robin_scheduling 0
		.amdhsa_exception_fp_ieee_invalid_op 0
		.amdhsa_exception_fp_denorm_src 0
		.amdhsa_exception_fp_ieee_div_zero 0
		.amdhsa_exception_fp_ieee_overflow 0
		.amdhsa_exception_fp_ieee_underflow 0
		.amdhsa_exception_fp_ieee_inexact 0
		.amdhsa_exception_int_div_zero 0
	.end_amdhsa_kernel
	.text
.Lfunc_end0:
	.size	bluestein_single_fwd_len156_dim1_dp_op_CI_CI, .Lfunc_end0-bluestein_single_fwd_len156_dim1_dp_op_CI_CI
                                        ; -- End function
	.section	.AMDGPU.csdata,"",@progbits
; Kernel info:
; codeLenInByte = 14924
; NumSgprs: 48
; NumVgprs: 256
; ScratchSize: 320
; MemoryBound: 0
; FloatMode: 240
; IeeeMode: 1
; LDSByteSize: 22464 bytes/workgroup (compile time only)
; SGPRBlocks: 5
; VGPRBlocks: 31
; NumSGPRsForWavesPerEU: 48
; NumVGPRsForWavesPerEU: 256
; Occupancy: 5
; WaveLimiterHint : 1
; COMPUTE_PGM_RSRC2:SCRATCH_EN: 1
; COMPUTE_PGM_RSRC2:USER_SGPR: 2
; COMPUTE_PGM_RSRC2:TRAP_HANDLER: 0
; COMPUTE_PGM_RSRC2:TGID_X_EN: 1
; COMPUTE_PGM_RSRC2:TGID_Y_EN: 0
; COMPUTE_PGM_RSRC2:TGID_Z_EN: 0
; COMPUTE_PGM_RSRC2:TIDIG_COMP_CNT: 0
	.text
	.p2alignl 7, 3214868480
	.fill 96, 4, 3214868480
	.type	__hip_cuid_c1d55e9559e20f7f,@object ; @__hip_cuid_c1d55e9559e20f7f
	.section	.bss,"aw",@nobits
	.globl	__hip_cuid_c1d55e9559e20f7f
__hip_cuid_c1d55e9559e20f7f:
	.byte	0                               ; 0x0
	.size	__hip_cuid_c1d55e9559e20f7f, 1

	.ident	"AMD clang version 19.0.0git (https://github.com/RadeonOpenCompute/llvm-project roc-6.4.0 25133 c7fe45cf4b819c5991fe208aaa96edf142730f1d)"
	.section	".note.GNU-stack","",@progbits
	.addrsig
	.addrsig_sym __hip_cuid_c1d55e9559e20f7f
	.amdgpu_metadata
---
amdhsa.kernels:
  - .args:
      - .actual_access:  read_only
        .address_space:  global
        .offset:         0
        .size:           8
        .value_kind:     global_buffer
      - .actual_access:  read_only
        .address_space:  global
        .offset:         8
        .size:           8
        .value_kind:     global_buffer
      - .actual_access:  read_only
        .address_space:  global
        .offset:         16
        .size:           8
        .value_kind:     global_buffer
      - .actual_access:  read_only
        .address_space:  global
        .offset:         24
        .size:           8
        .value_kind:     global_buffer
      - .actual_access:  read_only
        .address_space:  global
        .offset:         32
        .size:           8
        .value_kind:     global_buffer
      - .offset:         40
        .size:           8
        .value_kind:     by_value
      - .address_space:  global
        .offset:         48
        .size:           8
        .value_kind:     global_buffer
      - .address_space:  global
        .offset:         56
        .size:           8
        .value_kind:     global_buffer
      - .address_space:  global
        .offset:         64
        .size:           8
        .value_kind:     global_buffer
      - .address_space:  global
        .offset:         72
        .size:           8
        .value_kind:     global_buffer
      - .offset:         80
        .size:           4
        .value_kind:     by_value
      - .address_space:  global
        .offset:         88
        .size:           8
        .value_kind:     global_buffer
      - .address_space:  global
        .offset:         96
        .size:           8
        .value_kind:     global_buffer
    .group_segment_fixed_size: 22464
    .kernarg_segment_align: 8
    .kernarg_segment_size: 104
    .language:       OpenCL C
    .language_version:
      - 2
      - 0
    .max_flat_workgroup_size: 117
    .name:           bluestein_single_fwd_len156_dim1_dp_op_CI_CI
    .private_segment_fixed_size: 320
    .sgpr_count:     48
    .sgpr_spill_count: 0
    .symbol:         bluestein_single_fwd_len156_dim1_dp_op_CI_CI.kd
    .uniform_work_group_size: 1
    .uses_dynamic_stack: false
    .vgpr_count:     256
    .vgpr_spill_count: 79
    .wavefront_size: 32
    .workgroup_processor_mode: 1
amdhsa.target:   amdgcn-amd-amdhsa--gfx1201
amdhsa.version:
  - 1
  - 2
...

	.end_amdgpu_metadata
